;; amdgpu-corpus repo=ROCm/rocFFT kind=compiled arch=gfx906 opt=O3
	.text
	.amdgcn_target "amdgcn-amd-amdhsa--gfx906"
	.amdhsa_code_object_version 6
	.protected	bluestein_single_back_len286_dim1_half_op_CI_CI ; -- Begin function bluestein_single_back_len286_dim1_half_op_CI_CI
	.globl	bluestein_single_back_len286_dim1_half_op_CI_CI
	.p2align	8
	.type	bluestein_single_back_len286_dim1_half_op_CI_CI,@function
bluestein_single_back_len286_dim1_half_op_CI_CI: ; @bluestein_single_back_len286_dim1_half_op_CI_CI
; %bb.0:
	s_load_dwordx4 s[0:3], s[4:5], 0x28
	v_mul_u32_u24_e32 v1, 0x9d9, v0
	v_lshrrev_b32_e32 v1, 16, v1
	v_lshl_add_u32 v8, s6, 1, v1
	v_mov_b32_e32 v9, 0
	s_waitcnt lgkmcnt(0)
	v_cmp_gt_u64_e32 vcc, s[0:1], v[8:9]
	s_and_saveexec_b64 s[0:1], vcc
	s_cbranch_execz .LBB0_23
; %bb.1:
	s_load_dwordx2 s[6:7], s[4:5], 0x0
	s_load_dwordx2 s[12:13], s[4:5], 0x38
	v_mul_lo_u16_e32 v2, 26, v1
	v_sub_u16_e32 v28, v0, v2
	v_and_b32_e32 v0, 1, v1
	v_mov_b32_e32 v1, 0x11e
	v_cmp_eq_u32_e32 vcc, 1, v0
	v_cndmask_b32_e32 v29, 0, v1, vcc
	v_cmp_gt_u16_e64 s[0:1], 22, v28
	v_lshlrev_b32_e32 v27, 2, v28
	v_lshlrev_b32_e32 v30, 2, v29
	s_and_saveexec_b64 s[14:15], s[0:1]
	s_cbranch_execz .LBB0_3
; %bb.2:
	s_load_dwordx2 s[8:9], s[4:5], 0x18
	s_waitcnt lgkmcnt(0)
	s_load_dwordx4 s[8:11], s[8:9], 0x0
	s_waitcnt lgkmcnt(0)
	v_mad_u64_u32 v[0:1], s[16:17], s10, v8, 0
	v_mad_u64_u32 v[2:3], s[16:17], s8, v28, 0
	;; [unrolled: 1-line block ×4, first 2 shown]
	v_mov_b32_e32 v1, v4
	v_lshlrev_b64 v[0:1], 2, v[0:1]
	v_mov_b32_e32 v3, v5
	v_mov_b32_e32 v6, s3
	v_lshlrev_b64 v[2:3], 2, v[2:3]
	v_add_co_u32_e32 v0, vcc, s2, v0
	v_addc_co_u32_e32 v1, vcc, v6, v1, vcc
	v_add_co_u32_e32 v0, vcc, v0, v2
	s_mul_i32 s2, s9, 0x58
	s_mul_hi_u32 s3, s8, 0x58
	v_addc_co_u32_e32 v1, vcc, v1, v3, vcc
	s_mulk_i32 s8, 0x58
	s_add_i32 s2, s3, s2
	global_load_dword v2, v[0:1], off
	global_load_dword v3, v27, s[6:7]
	global_load_dword v4, v27, s[6:7] offset:88
	global_load_dword v5, v27, s[6:7] offset:176
	;; [unrolled: 1-line block ×7, first 2 shown]
	v_mov_b32_e32 v12, s2
	v_add_co_u32_e32 v0, vcc, s8, v0
	v_addc_co_u32_e32 v1, vcc, v1, v12, vcc
	global_load_dword v12, v[0:1], off
	v_mov_b32_e32 v13, s2
	v_add_co_u32_e32 v0, vcc, s8, v0
	v_addc_co_u32_e32 v1, vcc, v1, v13, vcc
	global_load_dword v13, v[0:1], off
	v_mov_b32_e32 v14, s2
	v_add_co_u32_e32 v0, vcc, s8, v0
	v_addc_co_u32_e32 v1, vcc, v1, v14, vcc
	global_load_dword v14, v[0:1], off
	v_mov_b32_e32 v15, s2
	v_add_co_u32_e32 v0, vcc, s8, v0
	v_addc_co_u32_e32 v1, vcc, v1, v15, vcc
	global_load_dword v15, v[0:1], off
	global_load_dword v16, v27, s[6:7] offset:704
	global_load_dword v17, v27, s[6:7] offset:792
	;; [unrolled: 1-line block ×3, first 2 shown]
	v_mov_b32_e32 v19, s2
	v_add_co_u32_e32 v0, vcc, s8, v0
	v_addc_co_u32_e32 v1, vcc, v1, v19, vcc
	global_load_dword v19, v[0:1], off
	v_mov_b32_e32 v20, s2
	v_add_co_u32_e32 v0, vcc, s8, v0
	v_addc_co_u32_e32 v1, vcc, v1, v20, vcc
	global_load_dword v20, v[0:1], off
	v_mov_b32_e32 v21, s2
	v_add_co_u32_e32 v0, vcc, s8, v0
	v_addc_co_u32_e32 v1, vcc, v1, v21, vcc
	global_load_dword v21, v[0:1], off
	v_mov_b32_e32 v22, s2
	v_add_co_u32_e32 v0, vcc, s8, v0
	v_addc_co_u32_e32 v1, vcc, v1, v22, vcc
	global_load_dword v22, v[0:1], off
	v_mov_b32_e32 v23, s2
	v_add_co_u32_e32 v0, vcc, s8, v0
	v_addc_co_u32_e32 v1, vcc, v1, v23, vcc
	global_load_dword v23, v[0:1], off
	v_mov_b32_e32 v24, s2
	v_add_co_u32_e32 v0, vcc, s8, v0
	v_addc_co_u32_e32 v1, vcc, v1, v24, vcc
	global_load_dword v24, v[0:1], off
	v_mov_b32_e32 v25, s2
	v_add_co_u32_e32 v0, vcc, s8, v0
	v_addc_co_u32_e32 v1, vcc, v1, v25, vcc
	global_load_dword v32, v[0:1], off
	global_load_dword v33, v27, s[6:7] offset:968
	v_add_co_u32_e32 v0, vcc, s8, v0
	v_addc_co_u32_e32 v1, vcc, v1, v25, vcc
	global_load_dword v25, v[0:1], off
	global_load_dword v34, v27, s[6:7] offset:1056
	s_waitcnt vmcnt(25)
	v_lshrrev_b32_e32 v26, 16, v2
	s_waitcnt vmcnt(24)
	v_mul_f16_sdwa v31, v3, v2 dst_sel:DWORD dst_unused:UNUSED_PAD src0_sel:WORD_1 src1_sel:DWORD
	v_mul_f16_sdwa v1, v3, v26 dst_sel:DWORD dst_unused:UNUSED_PAD src0_sel:WORD_1 src1_sel:DWORD
	v_fma_f16 v0, v3, v26, -v31
	v_fma_f16 v1, v3, v2, v1
	v_lshl_add_u32 v2, v28, 2, v30
	v_pack_b32_f16 v0, v1, v0
	ds_write_b32 v2, v0
	v_add_u32_e32 v2, v30, v27
	s_waitcnt vmcnt(16)
	v_lshrrev_b32_e32 v0, 16, v12
	v_mul_f16_sdwa v1, v4, v0 dst_sel:DWORD dst_unused:UNUSED_PAD src0_sel:WORD_1 src1_sel:DWORD
	v_mul_f16_sdwa v3, v4, v12 dst_sel:DWORD dst_unused:UNUSED_PAD src0_sel:WORD_1 src1_sel:DWORD
	v_fma_f16 v1, v4, v12, v1
	v_fma_f16 v0, v4, v0, -v3
	v_pack_b32_f16 v0, v1, v0
	s_waitcnt vmcnt(15)
	v_lshrrev_b32_e32 v1, 16, v13
	v_mul_f16_sdwa v3, v5, v1 dst_sel:DWORD dst_unused:UNUSED_PAD src0_sel:WORD_1 src1_sel:DWORD
	v_mul_f16_sdwa v4, v5, v13 dst_sel:DWORD dst_unused:UNUSED_PAD src0_sel:WORD_1 src1_sel:DWORD
	v_fma_f16 v3, v5, v13, v3
	v_fma_f16 v1, v5, v1, -v4
	v_pack_b32_f16 v1, v3, v1
	ds_write2_b32 v2, v0, v1 offset0:22 offset1:44
	s_waitcnt vmcnt(14)
	v_lshrrev_b32_e32 v0, 16, v14
	v_mul_f16_sdwa v1, v6, v0 dst_sel:DWORD dst_unused:UNUSED_PAD src0_sel:WORD_1 src1_sel:DWORD
	v_mul_f16_sdwa v3, v6, v14 dst_sel:DWORD dst_unused:UNUSED_PAD src0_sel:WORD_1 src1_sel:DWORD
	v_fma_f16 v1, v6, v14, v1
	v_fma_f16 v0, v6, v0, -v3
	v_pack_b32_f16 v0, v1, v0
	s_waitcnt vmcnt(13)
	v_lshrrev_b32_e32 v1, 16, v15
	v_mul_f16_sdwa v3, v7, v1 dst_sel:DWORD dst_unused:UNUSED_PAD src0_sel:WORD_1 src1_sel:DWORD
	v_mul_f16_sdwa v4, v7, v15 dst_sel:DWORD dst_unused:UNUSED_PAD src0_sel:WORD_1 src1_sel:DWORD
	v_fma_f16 v3, v7, v15, v3
	v_fma_f16 v1, v7, v1, -v4
	v_pack_b32_f16 v1, v3, v1
	ds_write2_b32 v2, v0, v1 offset0:66 offset1:88
	;; [unrolled: 15-line block ×5, first 2 shown]
	s_waitcnt vmcnt(3)
	v_lshrrev_b32_e32 v0, 16, v32
	s_waitcnt vmcnt(2)
	v_mul_f16_sdwa v1, v33, v0 dst_sel:DWORD dst_unused:UNUSED_PAD src0_sel:WORD_1 src1_sel:DWORD
	v_mul_f16_sdwa v3, v33, v32 dst_sel:DWORD dst_unused:UNUSED_PAD src0_sel:WORD_1 src1_sel:DWORD
	v_fma_f16 v1, v33, v32, v1
	v_fma_f16 v0, v33, v0, -v3
	v_pack_b32_f16 v0, v1, v0
	s_waitcnt vmcnt(1)
	v_lshrrev_b32_e32 v1, 16, v25
	s_waitcnt vmcnt(0)
	v_mul_f16_sdwa v3, v34, v1 dst_sel:DWORD dst_unused:UNUSED_PAD src0_sel:WORD_1 src1_sel:DWORD
	v_mul_f16_sdwa v4, v34, v25 dst_sel:DWORD dst_unused:UNUSED_PAD src0_sel:WORD_1 src1_sel:DWORD
	v_fma_f16 v3, v34, v25, v3
	v_fma_f16 v1, v34, v1, -v4
	v_pack_b32_f16 v1, v3, v1
	v_add_u32_e32 v2, 0x200, v2
	ds_write2_b32 v2, v0, v1 offset0:114 offset1:136
.LBB0_3:
	s_or_b64 exec, exec, s[14:15]
	s_load_dwordx2 s[2:3], s[4:5], 0x20
	s_load_dwordx2 s[14:15], s[4:5], 0x8
	v_mov_b32_e32 v0, 0
	s_waitcnt lgkmcnt(0)
	; wave barrier
	s_waitcnt lgkmcnt(0)
                                        ; implicit-def: $vgpr11
                                        ; implicit-def: $vgpr3
                                        ; implicit-def: $vgpr5
                                        ; implicit-def: $vgpr7
                                        ; implicit-def: $vgpr10
                                        ; implicit-def: $vgpr14
	s_and_saveexec_b64 s[4:5], s[0:1]
	s_cbranch_execz .LBB0_5
; %bb.4:
	v_lshl_add_u32 v11, v29, 2, v27
	ds_read2_b32 v[0:1], v11 offset1:22
	ds_read2_b32 v[13:14], v11 offset0:44 offset1:66
	ds_read2_b32 v[9:10], v11 offset0:88 offset1:110
	;; [unrolled: 1-line block ×5, first 2 shown]
	ds_read_b32 v11, v11 offset:1056
.LBB0_5:
	s_or_b64 exec, exec, s[4:5]
	s_waitcnt lgkmcnt(0)
	v_pk_add_f16 v17, v11, v1
	v_pk_add_f16 v15, v1, v11 neg_lo:[0,1] neg_hi:[0,1]
	v_lshrrev_b32_e32 v40, 16, v17
	s_movk_i32 s9, 0x388b
	v_mul_f16_e32 v37, 0xba95, v15
	s_mov_b32 s25, 0xb770
	v_fma_f16 v16, v40, s9, -v37
	s_movk_i32 s8, 0x3b15
	v_mul_f16_sdwa v22, v15, s25 dst_sel:DWORD dst_unused:UNUSED_PAD src0_sel:WORD_1 src1_sel:DWORD
	s_mov_b32 s21, 0xba95
	v_add_f16_sdwa v18, v16, v0 dst_sel:DWORD dst_unused:UNUSED_PAD src0_sel:DWORD src1_sel:WORD_1
	v_pk_add_f16 v16, v13, v3 neg_lo:[0,1] neg_hi:[0,1]
	v_fma_f16 v12, v17, s8, v22
	v_pk_add_f16 v19, v3, v13
	v_mul_f16_sdwa v25, v16, s21 dst_sel:DWORD dst_unused:UNUSED_PAD src0_sel:WORD_1 src1_sel:DWORD
	v_add_f16_e32 v12, v12, v0
	v_fma_f16 v20, v19, s9, v25
	v_lshrrev_b32_e32 v41, 16, v19
	s_mov_b32 s11, 0xb5ac
	v_mul_f16_e32 v38, 0xbb7b, v16
	v_add_f16_e32 v12, v20, v12
	v_fma_f16 v20, v41, s11, -v38
	v_add_f16_e32 v21, v20, v18
	v_pk_add_f16 v18, v14, v2 neg_lo:[0,1] neg_hi:[0,1]
	s_mov_b32 s23, 0xbbf1
	v_pk_add_f16 v20, v2, v14
	s_movk_i32 s16, 0x2fb7
	v_mul_f16_sdwa v35, v18, s23 dst_sel:DWORD dst_unused:UNUSED_PAD src0_sel:WORD_1 src1_sel:DWORD
	v_fma_f16 v23, v20, s16, v35
	v_lshrrev_b32_e32 v45, 16, v20
	s_mov_b32 s17, 0xbbc4
	v_mul_f16_e32 v42, 0xb3a8, v18
	v_add_f16_e32 v12, v23, v12
	v_fma_f16 v23, v45, s17, -v42
	s_mov_b32 s10, 0xbb7b
	v_add_f16_e32 v24, v23, v21
	v_pk_add_f16 v21, v9, v5 neg_lo:[0,1] neg_hi:[0,1]
	v_pk_add_f16 v23, v5, v9
	v_mul_f16_sdwa v39, v21, s10 dst_sel:DWORD dst_unused:UNUSED_PAD src0_sel:WORD_1 src1_sel:DWORD
	v_fma_f16 v26, v23, s11, v39
	s_mov_b32 s19, 0xb9fd
	v_lshrrev_b32_e32 v48, 16, v23
	v_mul_f16_e32 v46, 0x394e, v21
	v_add_f16_e32 v12, v26, v12
	v_fma_f16 v26, v48, s19, -v46
	v_add_f16_e32 v31, v26, v24
	s_mov_b32 s18, 0xb94e
	v_pk_add_f16 v24, v10, v4 neg_lo:[0,1] neg_hi:[0,1]
	v_pk_add_f16 v26, v4, v10
	v_mul_f16_sdwa v43, v24, s18 dst_sel:DWORD dst_unused:UNUSED_PAD src0_sel:WORD_1 src1_sel:DWORD
	v_fma_f16 v32, v26, s19, v43
	v_lshrrev_b32_e32 v50, 16, v26
	v_mul_f16_e32 v49, 0x3bf1, v24
	v_add_f16_e32 v12, v32, v12
	v_fma_f16 v32, v50, s16, -v49
	v_add_f16_e32 v32, v32, v31
	s_mov_b32 s20, 0xb3a8
	v_pk_add_f16 v31, v6, v7 neg_lo:[0,1] neg_hi:[0,1]
	v_pk_add_f16 v36, v7, v6
	v_mul_f16_sdwa v47, v31, s20 dst_sel:DWORD dst_unused:UNUSED_PAD src0_sel:WORD_1 src1_sel:DWORD
	v_fma_f16 v33, v36, s17, v47
	v_lshrrev_b32_e32 v52, 16, v36
	v_mul_f16_e32 v51, 0x3770, v31
	v_add_f16_e32 v33, v33, v12
	v_fma_f16 v12, v52, s8, -v51
	s_mov_b32 s4, 0x3b15388b
	v_add_f16_e32 v44, v12, v32
	s_mov_b32 s5, 0xba95b770
	v_pk_mul_f16 v12, v17, s4
	s_mov_b32 s4, 0x388bb5ac
	v_pk_fma_f16 v53, v15, s5, v12 op_sel:[0,0,1] op_sel_hi:[1,1,0] neg_lo:[1,0,0] neg_hi:[1,0,0]
	v_pk_fma_f16 v54, v15, s5, v12 op_sel:[0,0,1] op_sel_hi:[1,1,0]
	s_mov_b32 s5, 0xbb7bba95
	v_pk_mul_f16 v12, v19, s4
	s_mov_b32 s4, 0x2fb7bbc4
	v_pk_fma_f16 v55, v16, s5, v12 op_sel:[0,0,1] op_sel_hi:[1,1,0] neg_lo:[1,0,0] neg_hi:[1,0,0]
	v_pk_fma_f16 v56, v16, s5, v12 op_sel:[0,0,1] op_sel_hi:[1,1,0]
	;; [unrolled: 5-line block ×4, first 2 shown]
	s_mov_b32 s5, 0x3bf1b94e
	v_pk_mul_f16 v12, v26, s4
	v_pk_fma_f16 v61, v24, s5, v12 op_sel:[0,0,1] op_sel_hi:[1,1,0] neg_lo:[1,0,0] neg_hi:[1,0,0]
	v_pk_fma_f16 v62, v24, s5, v12 op_sel:[0,0,1] op_sel_hi:[1,1,0]
	v_add_f16_sdwa v12, v53, v0 dst_sel:DWORD dst_unused:UNUSED_PAD src0_sel:DWORD src1_sel:WORD_1
	v_add_f16_e32 v12, v55, v12
	s_mov_b32 s4, 0xbbc43b15
	v_add_f16_e32 v12, v57, v12
	s_mov_b32 s5, 0x3770b3a8
	v_add_f16_e32 v12, v59, v12
	v_pk_mul_f16 v32, v36, s4
	v_add_f16_e32 v12, v61, v12
	v_pk_fma_f16 v63, v31, s5, v32 op_sel:[0,0,1] op_sel_hi:[1,1,0] neg_lo:[1,0,0] neg_hi:[1,0,0]
	v_add_f16_e32 v34, v63, v12
	v_add_f16_sdwa v12, v54, v0 dst_sel:DWORD dst_unused:UNUSED_PAD src0_sel:WORD_1 src1_sel:DWORD
	v_add_f16_sdwa v12, v56, v12 dst_sel:DWORD dst_unused:UNUSED_PAD src0_sel:WORD_1 src1_sel:DWORD
	;; [unrolled: 1-line block ×4, first 2 shown]
	v_pk_fma_f16 v64, v31, s5, v32 op_sel:[0,0,1] op_sel_hi:[1,1,0]
	v_add_f16_sdwa v12, v62, v12 dst_sel:DWORD dst_unused:UNUSED_PAD src0_sel:WORD_1 src1_sel:DWORD
	s_movk_i32 s27, 0x394e
	s_movk_i32 s22, 0x3bf1
	;; [unrolled: 1-line block ×3, first 2 shown]
	v_add_f16_sdwa v12, v64, v12 dst_sel:DWORD dst_unused:UNUSED_PAD src0_sel:WORD_1 src1_sel:DWORD
	v_mul_lo_u16_e32 v32, 13, v28
	s_waitcnt lgkmcnt(0)
	; wave barrier
	s_and_saveexec_b64 s[4:5], s[0:1]
	s_cbranch_execz .LBB0_7
; %bb.6:
	v_mul_f16_e32 v65, 0x2fb7, v40
	v_fma_f16 v66, v15, s22, v65
	v_mul_f16_e32 v67, 0xbbc4, v41
	s_movk_i32 s28, 0x33a8
	v_add_f16_sdwa v66, v66, v0 dst_sel:DWORD dst_unused:UNUSED_PAD src0_sel:DWORD src1_sel:WORD_1
	v_fma_f16 v68, v16, s28, v67
	v_add_f16_e32 v66, v68, v66
	v_mul_f16_e32 v68, 0xb5ac, v45
	v_fma_f16 v69, v18, s10, v68
	v_add_f16_e32 v66, v69, v66
	v_mul_f16_e32 v69, 0x3b15, v48
	v_fma_f16 v70, v21, s25, v69
	v_add_f16_e32 v66, v70, v66
	v_mul_f16_e32 v70, 0x388b, v50
	s_movk_i32 s26, 0x3a95
	v_fma_f16 v71, v24, s26, v70
	v_add_f16_e32 v66, v71, v66
	v_mul_f16_e32 v71, 0xb9fd, v52
	v_fma_f16 v72, v31, s27, v71
	v_add_f16_e32 v66, v72, v66
	v_mul_f16_sdwa v72, v15, s23 dst_sel:DWORD dst_unused:UNUSED_PAD src0_sel:WORD_1 src1_sel:DWORD
	v_fma_f16 v73, v17, s16, v72
	v_mul_f16_sdwa v74, v16, s20 dst_sel:DWORD dst_unused:UNUSED_PAD src0_sel:WORD_1 src1_sel:DWORD
	v_add_f16_e32 v73, v73, v0
	v_fma_f16 v75, v19, s17, v74
	s_movk_i32 s29, 0x3b7b
	v_add_f16_e32 v73, v75, v73
	v_mul_f16_sdwa v75, v18, s29 dst_sel:DWORD dst_unused:UNUSED_PAD src0_sel:WORD_1 src1_sel:DWORD
	v_fma_f16 v76, v20, s11, v75
	v_add_f16_e32 v73, v76, v73
	v_mul_f16_sdwa v76, v21, s24 dst_sel:DWORD dst_unused:UNUSED_PAD src0_sel:WORD_1 src1_sel:DWORD
	v_fma_f16 v77, v23, s8, v76
	;; [unrolled: 3-line block ×4, first 2 shown]
	v_add_f16_e32 v73, v79, v73
	v_mul_f16_e32 v79, 0xb5ac, v40
	v_fma_f16 v80, v15, s29, v79
	v_mul_f16_e32 v81, 0xb9fd, v41
	v_add_f16_sdwa v80, v80, v0 dst_sel:DWORD dst_unused:UNUSED_PAD src0_sel:DWORD src1_sel:WORD_1
	v_fma_f16 v82, v16, s18, v81
	v_add_f16_e32 v80, v82, v80
	v_mul_f16_e32 v82, 0x3b15, v45
	v_fma_f16 v83, v18, s25, v82
	v_add_f16_e32 v80, v83, v80
	v_mul_f16_e32 v83, 0x2fb7, v48
	;; [unrolled: 3-line block ×4, first 2 shown]
	v_fma_f16 v86, v31, s21, v85
	v_add_f16_e32 v80, v86, v80
	v_mul_f16_sdwa v86, v15, s10 dst_sel:DWORD dst_unused:UNUSED_PAD src0_sel:WORD_1 src1_sel:DWORD
	v_fma_f16 v87, v17, s11, v86
	v_mul_f16_sdwa v88, v16, s27 dst_sel:DWORD dst_unused:UNUSED_PAD src0_sel:WORD_1 src1_sel:DWORD
	v_add_f16_e32 v87, v87, v0
	v_fma_f16 v89, v19, s19, v88
	v_add_f16_e32 v87, v89, v87
	v_mul_f16_sdwa v89, v18, s24 dst_sel:DWORD dst_unused:UNUSED_PAD src0_sel:WORD_1 src1_sel:DWORD
	v_fma_f16 v90, v20, s8, v89
	v_add_f16_e32 v87, v90, v87
	v_mul_f16_sdwa v90, v21, s23 dst_sel:DWORD dst_unused:UNUSED_PAD src0_sel:WORD_1 src1_sel:DWORD
	;; [unrolled: 3-line block ×4, first 2 shown]
	v_fma_f16 v93, v36, s9, v92
	v_add_f16_e32 v87, v93, v87
	v_mul_f16_e32 v93, 0xb9fd, v40
	v_fma_f16 v65, v15, s23, v65
	v_fma_f16 v94, v15, s27, v93
	v_mul_f16_e32 v95, 0x2fb7, v41
	v_add_f16_sdwa v65, v65, v0 dst_sel:DWORD dst_unused:UNUSED_PAD src0_sel:DWORD src1_sel:WORD_1
	v_fma_f16 v67, v16, s20, v67
	v_add_f16_sdwa v94, v94, v0 dst_sel:DWORD dst_unused:UNUSED_PAD src0_sel:DWORD src1_sel:WORD_1
	v_fma_f16 v96, v16, s23, v95
	v_add_f16_e32 v65, v67, v65
	v_fma_f16 v67, v18, s29, v68
	v_add_f16_e32 v94, v96, v94
	v_mul_f16_e32 v96, 0x388b, v45
	v_add_f16_e32 v65, v67, v65
	v_fma_f16 v67, v21, s24, v69
	v_fma_f16 v97, v18, s26, v96
	v_add_f16_e32 v65, v67, v65
	v_fma_f16 v67, v24, s21, v70
	v_add_f16_e32 v94, v97, v94
	v_mul_f16_e32 v97, 0xbbc4, v48
	v_add_f16_e32 v65, v67, v65
	v_fma_f16 v67, v31, s18, v71
	v_fma_f16 v98, v21, s20, v97
	v_add_f16_e32 v65, v67, v65
	v_alignbit_b32 v67, v0, v0, 16
	v_add_f16_e32 v94, v98, v94
	v_mul_f16_e32 v98, 0x3b15, v50
	v_pk_add_f16 v1, v1, v67 op_sel:[0,1] op_sel_hi:[1,0]
	v_fma_f16 v99, v24, s25, v98
	v_mul_f16_e32 v40, 0x388b, v40
	v_pk_add_f16 v1, v13, v1
	v_add_f16_e32 v94, v99, v94
	v_mul_f16_e32 v99, 0xb5ac, v52
	v_fma_f16 v93, v15, s18, v93
	v_fma_f16 v79, v15, s10, v79
	v_mul_f16_e32 v41, 0xb5ac, v41
	v_add_f16_e32 v37, v37, v40
	v_pk_add_f16 v1, v14, v1
	v_fma_f16 v100, v31, s29, v99
	v_add_f16_sdwa v93, v93, v0 dst_sel:DWORD dst_unused:UNUSED_PAD src0_sel:DWORD src1_sel:WORD_1
	v_fma_f16 v95, v16, s22, v95
	v_add_f16_sdwa v79, v79, v0 dst_sel:DWORD dst_unused:UNUSED_PAD src0_sel:DWORD src1_sel:WORD_1
	v_fma_f16 v81, v16, s27, v81
	v_mul_f16_e32 v45, 0xbbc4, v45
	v_add_f16_sdwa v37, v37, v0 dst_sel:DWORD dst_unused:UNUSED_PAD src0_sel:DWORD src1_sel:WORD_1
	v_add_f16_e32 v38, v38, v41
	v_pk_add_f16 v1, v9, v1
	v_add_f16_e32 v94, v100, v94
	v_mul_f16_sdwa v100, v15, s18 dst_sel:DWORD dst_unused:UNUSED_PAD src0_sel:WORD_1 src1_sel:DWORD
	v_add_f16_e32 v93, v95, v93
	v_fma_f16 v95, v18, s21, v96
	v_add_f16_e32 v79, v81, v79
	v_fma_f16 v81, v18, s24, v82
	v_mul_f16_e32 v48, 0xb9fd, v48
	v_add_f16_e32 v37, v38, v37
	v_add_f16_e32 v38, v42, v45
	v_pk_add_f16 v1, v10, v1
	v_fma_f16 v101, v17, s19, v100
	v_mul_f16_sdwa v102, v16, s22 dst_sel:DWORD dst_unused:UNUSED_PAD src0_sel:WORD_1 src1_sel:DWORD
	v_add_f16_e32 v93, v95, v93
	v_fma_f16 v95, v21, s28, v97
	v_add_f16_e32 v79, v81, v79
	v_fma_f16 v81, v21, s23, v83
	v_fma_f16 v68, v17, s16, -v72
	v_mul_f16_e32 v50, 0x2fb7, v50
	v_add_f16_e32 v37, v38, v37
	v_add_f16_e32 v38, v46, v48
	v_pk_add_f16 v1, v6, v1
	v_add_f16_e32 v101, v101, v0
	v_fma_f16 v103, v19, s16, v102
	v_add_f16_e32 v93, v95, v93
	v_fma_f16 v95, v24, s24, v98
	;; [unrolled: 2-line block ×3, first 2 shown]
	v_add_f16_e32 v68, v68, v0
	v_fma_f16 v69, v19, s17, -v74
	v_mul_f16_e32 v52, 0x3b15, v52
	v_add_f16_e32 v37, v38, v37
	v_add_f16_e32 v38, v49, v50
	v_pk_add_f16 v1, v7, v1
	v_add_f16_e32 v101, v103, v101
	v_mul_f16_sdwa v103, v18, s21 dst_sel:DWORD dst_unused:UNUSED_PAD src0_sel:WORD_1 src1_sel:DWORD
	v_add_f16_e32 v93, v95, v93
	v_fma_f16 v95, v31, s10, v99
	v_add_f16_e32 v79, v81, v79
	v_fma_f16 v81, v31, s26, v85
	v_add_f16_e32 v68, v69, v68
	v_mul_f16_e32 v69, 0x3b15, v17
	v_fma_f16 v70, v20, s11, -v75
	v_add_f16_e32 v37, v38, v37
	v_add_f16_e32 v38, v51, v52
	s_mov_b32 s21, 0xffff
	v_pk_add_f16 v1, v4, v1
	v_add_f16_e32 v93, v95, v93
	v_fma_f16 v95, v17, s19, -v100
	v_add_f16_e32 v79, v81, v79
	v_fma_f16 v81, v17, s11, -v86
	v_add_f16_e32 v68, v70, v68
	v_mul_f16_e32 v70, 0x388b, v19
	v_fma_f16 v71, v23, s8, -v76
	v_add_f16_e32 v37, v38, v37
	v_bfi_b32 v38, s21, v54, v53
	v_sub_f16_e32 v22, v69, v22
	v_pk_add_f16 v1, v5, v1
	v_fma_f16 v104, v20, s9, v103
	v_add_f16_e32 v95, v95, v0
	v_add_f16_e32 v81, v81, v0
	;; [unrolled: 1-line block ×3, first 2 shown]
	v_mul_f16_e32 v71, 0x2fb7, v20
	v_fma_f16 v72, v26, s9, -v77
	v_bfi_b32 v41, s21, v56, v55
	v_add_f16_e32 v0, v22, v0
	v_sub_f16_e32 v22, v70, v25
	v_pk_add_f16 v1, v2, v1
	v_pk_add_f16 v2, v38, v67
	v_add_f16_e32 v101, v104, v101
	v_mul_f16_sdwa v104, v21, s28 dst_sel:DWORD dst_unused:UNUSED_PAD src0_sel:WORD_1 src1_sel:DWORD
	v_fma_f16 v82, v19, s19, -v88
	v_add_f16_e32 v68, v72, v68
	v_mul_f16_e32 v72, 0xb5ac, v23
	v_fma_f16 v74, v36, s19, -v78
	v_bfi_b32 v42, s21, v58, v57
	v_add_f16_e32 v0, v22, v0
	v_sub_f16_e32 v22, v71, v35
	v_pk_add_f16 v2, v41, v2
	v_fma_f16 v105, v23, s17, v104
	v_fma_f16 v96, v19, s16, -v102
	v_add_f16_e32 v81, v82, v81
	v_fma_f16 v82, v20, s8, -v89
	v_add_f16_e32 v68, v74, v68
	v_mul_f16_e32 v74, 0xb9fd, v26
	v_bfi_b32 v45, s21, v60, v59
	v_add_f16_e32 v0, v22, v0
	v_sub_f16_e32 v22, v72, v39
	v_pk_add_f16 v2, v42, v2
	v_add_f16_e32 v101, v105, v101
	v_mul_f16_sdwa v105, v24, s24 dst_sel:DWORD dst_unused:UNUSED_PAD src0_sel:WORD_1 src1_sel:DWORD
	v_add_f16_e32 v95, v96, v95
	v_fma_f16 v96, v20, s9, -v103
	v_add_f16_e32 v81, v82, v81
	v_fma_f16 v82, v23, s16, -v90
	v_mul_f16_e32 v40, 0xbbc4, v36
	v_bfi_b32 v46, s21, v62, v61
	v_add_f16_e32 v0, v22, v0
	v_sub_f16_e32 v22, v74, v43
	v_pk_add_f16 v2, v45, v2
	v_fma_f16 v106, v26, s8, v105
	v_add_f16_e32 v95, v96, v95
	v_fma_f16 v96, v23, s17, -v104
	v_add_f16_e32 v81, v82, v81
	v_fma_f16 v82, v26, s17, -v91
	v_bfi_b32 v48, s21, v64, v63
	v_add_f16_e32 v0, v22, v0
	v_sub_f16_e32 v22, v40, v47
	v_pk_add_f16 v2, v46, v2
	v_add_f16_e32 v101, v106, v101
	v_mul_f16_sdwa v106, v31, s10 dst_sel:DWORD dst_unused:UNUSED_PAD src0_sel:WORD_1 src1_sel:DWORD
	v_add_f16_e32 v95, v96, v95
	v_fma_f16 v96, v26, s8, -v105
	v_add_f16_e32 v81, v82, v81
	v_fma_f16 v82, v36, s9, -v92
	v_add_f16_e32 v0, v22, v0
	v_pk_add_f16 v2, v48, v2
	v_add_f16_e32 v95, v96, v95
	v_fma_f16 v96, v36, s11, -v106
	v_add_f16_e32 v81, v82, v81
	v_add_lshl_u32 v22, v29, v32, 2
	v_pk_add_f16 v1, v3, v1
	v_alignbit_b32 v3, v37, v2, 16
	v_pack_b32_f16 v0, v0, v2
	v_add_f16_e32 v95, v96, v95
	ds_write2_b32 v22, v0, v3 offset0:1 offset1:2
	v_pack_b32_f16 v0, v81, v79
	v_pack_b32_f16 v2, v68, v65
	v_pk_add_f16 v1, v11, v1
	ds_write2_b32 v22, v2, v0 offset0:3 offset1:4
	v_pack_b32_f16 v0, v95, v93
	ds_write2_b32 v22, v1, v0 offset1:5
	v_pk_mul_f16 v0, v17, s17 op_sel_hi:[1,0]
	v_pk_fma_f16 v1, v15, s20, v0 op_sel:[0,0,1] op_sel_hi:[1,0,0] neg_lo:[1,0,0] neg_hi:[1,0,0]
	v_pk_mul_f16 v2, v19, s8 op_sel_hi:[1,0]
	v_pk_add_f16 v1, v1, v67
	v_pk_fma_f16 v3, v16, s24, v2 op_sel:[0,0,1] op_sel_hi:[1,0,0] neg_lo:[1,0,0] neg_hi:[1,0,0]
	v_pk_add_f16 v1, v3, v1
	v_pk_mul_f16 v3, v20, s19 op_sel_hi:[1,0]
	v_pk_fma_f16 v4, v18, s18, v3 op_sel:[0,0,1] op_sel_hi:[1,0,0] neg_lo:[1,0,0] neg_hi:[1,0,0]
	v_pk_add_f16 v1, v4, v1
	v_pk_mul_f16 v4, v23, s9 op_sel_hi:[1,0]
	v_pk_fma_f16 v0, v15, s20, v0 op_sel:[0,0,1] op_sel_hi:[1,0,0]
	v_pk_fma_f16 v5, v21, s26, v4 op_sel:[0,0,1] op_sel_hi:[1,0,0] neg_lo:[1,0,0] neg_hi:[1,0,0]
	v_pk_add_f16 v0, v0, v67
	v_pk_fma_f16 v2, v16, s24, v2 op_sel:[0,0,1] op_sel_hi:[1,0,0]
	v_pk_add_f16 v1, v5, v1
	v_pk_mul_f16 v5, v26, s11 op_sel_hi:[1,0]
	v_pk_add_f16 v0, v2, v0
	v_pk_fma_f16 v2, v18, s18, v3 op_sel:[0,0,1] op_sel_hi:[1,0,0]
	v_pk_fma_f16 v6, v24, s10, v5 op_sel:[0,0,1] op_sel_hi:[1,0,0] neg_lo:[1,0,0] neg_hi:[1,0,0]
	v_pk_add_f16 v0, v2, v0
	v_pk_fma_f16 v2, v21, s26, v4 op_sel:[0,0,1] op_sel_hi:[1,0,0]
	v_pk_add_f16 v1, v6, v1
	v_pk_mul_f16 v6, v36, s16 op_sel_hi:[1,0]
	v_pk_add_f16 v0, v2, v0
	v_pk_fma_f16 v2, v24, s10, v5 op_sel:[0,0,1] op_sel_hi:[1,0,0]
	v_pk_fma_f16 v7, v31, s22, v6 op_sel:[0,0,1] op_sel_hi:[1,0,0] neg_lo:[1,0,0] neg_hi:[1,0,0]
	v_pk_add_f16 v0, v2, v0
	v_pk_fma_f16 v2, v31, s22, v6 op_sel:[0,0,1] op_sel_hi:[1,0,0]
	v_fma_f16 v107, v36, s11, v106
	v_pk_add_f16 v1, v7, v1
	v_pk_add_f16 v0, v2, v0
	v_add_f16_e32 v101, v107, v101
	v_alignbit_b32 v2, v1, v0, 16
	v_alignbit_b32 v0, v0, v1, 16
	ds_write2_b32 v22, v0, v2 offset0:6 offset1:7
	v_pack_b32_f16 v0, v87, v80
	v_pack_b32_f16 v1, v101, v94
	s_mov_b32 s8, 0x5040100
	ds_write2_b32 v22, v1, v0 offset0:8 offset1:9
	v_pack_b32_f16 v0, v73, v66
	v_perm_b32 v1, v44, v12, s8
	ds_write2_b32 v22, v0, v1 offset0:10 offset1:11
	v_perm_b32 v0, v34, v33, s8
	ds_write_b32 v22, v0 offset:48
.LBB0_7:
	s_or_b64 exec, exec, s[4:5]
	v_add_co_u32_e32 v13, vcc, -13, v28
	s_load_dwordx4 s[8:11], s[2:3], 0x0
	v_addc_co_u32_e64 v14, s[2:3], 0, -1, vcc
	v_cmp_gt_u16_e64 s[2:3], 13, v28
	v_cndmask_b32_e64 v25, v13, v28, s[2:3]
	v_mul_hi_i32_i24_e32 v1, 10, v25
	v_mul_i32_i24_e32 v0, 10, v25
	v_lshlrev_b64 v[0:1], 2, v[0:1]
	v_mov_b32_e32 v2, s15
	v_add_co_u32_e32 v15, vcc, s14, v0
	v_addc_co_u32_e32 v16, vcc, v2, v1, vcc
	s_waitcnt lgkmcnt(0)
	; wave barrier
	s_waitcnt lgkmcnt(0)
	global_load_dwordx4 v[0:3], v[15:16], off
	global_load_dwordx4 v[4:7], v[15:16], off offset:16
	global_load_dwordx2 v[9:10], v[15:16], off offset:32
	v_add_lshl_u32 v31, v29, v28, 2
	ds_read2_b32 v[15:16], v31 offset1:26
	ds_read2_b32 v[17:18], v31 offset0:52 offset1:78
	ds_read2_b32 v[19:20], v31 offset0:104 offset1:130
	;; [unrolled: 1-line block ×4, first 2 shown]
	ds_read_b32 v11, v31 offset:1040
	s_waitcnt lgkmcnt(5)
	v_lshrrev_b32_e32 v26, 16, v16
	s_waitcnt lgkmcnt(4)
	v_lshrrev_b32_e32 v35, 16, v17
	v_lshrrev_b32_e32 v36, 16, v18
	s_waitcnt lgkmcnt(3)
	v_lshrrev_b32_e32 v37, 16, v19
	;; [unrolled: 3-line block ×5, first 2 shown]
	s_movk_i32 s16, 0x3abb
	s_movk_i32 s4, 0x36a6
	s_mov_b32 s5, 0xb08e
	s_mov_b32 s17, 0xb93d
	;; [unrolled: 1-line block ×3, first 2 shown]
	v_cmp_lt_u16_e32 vcc, 12, v28
	s_waitcnt lgkmcnt(0)
	; wave barrier
	s_waitcnt vmcnt(2)
	v_mul_f16_sdwa v45, v26, v0 dst_sel:DWORD dst_unused:UNUSED_PAD src0_sel:DWORD src1_sel:WORD_1
	v_mul_f16_sdwa v46, v16, v0 dst_sel:DWORD dst_unused:UNUSED_PAD src0_sel:DWORD src1_sel:WORD_1
	v_mul_f16_sdwa v47, v35, v1 dst_sel:DWORD dst_unused:UNUSED_PAD src0_sel:DWORD src1_sel:WORD_1
	v_fma_f16 v16, v16, v0, -v45
	v_mul_f16_sdwa v48, v17, v1 dst_sel:DWORD dst_unused:UNUSED_PAD src0_sel:DWORD src1_sel:WORD_1
	v_mul_f16_sdwa v49, v36, v2 dst_sel:DWORD dst_unused:UNUSED_PAD src0_sel:DWORD src1_sel:WORD_1
	v_fma_f16 v17, v17, v1, -v47
	v_add_f16_e32 v45, v15, v16
	v_mul_f16_sdwa v50, v18, v2 dst_sel:DWORD dst_unused:UNUSED_PAD src0_sel:DWORD src1_sel:WORD_1
	v_mul_f16_sdwa v51, v37, v3 dst_sel:DWORD dst_unused:UNUSED_PAD src0_sel:DWORD src1_sel:WORD_1
	v_fma_f16 v26, v26, v0, v46
	v_fma_f16 v18, v18, v2, -v49
	v_add_f16_e32 v45, v45, v17
	v_mul_f16_sdwa v52, v19, v3 dst_sel:DWORD dst_unused:UNUSED_PAD src0_sel:DWORD src1_sel:WORD_1
	s_waitcnt vmcnt(1)
	v_mul_f16_sdwa v53, v38, v4 dst_sel:DWORD dst_unused:UNUSED_PAD src0_sel:DWORD src1_sel:WORD_1
	v_fma_f16 v35, v35, v1, v48
	v_fma_f16 v19, v19, v3, -v51
	v_add_f16_sdwa v46, v15, v26 dst_sel:DWORD dst_unused:UNUSED_PAD src0_sel:WORD_1 src1_sel:DWORD
	v_add_f16_e32 v45, v45, v18
	v_mul_f16_sdwa v54, v20, v4 dst_sel:DWORD dst_unused:UNUSED_PAD src0_sel:DWORD src1_sel:WORD_1
	v_mul_f16_sdwa v55, v39, v5 dst_sel:DWORD dst_unused:UNUSED_PAD src0_sel:DWORD src1_sel:WORD_1
	v_fma_f16 v36, v36, v2, v50
	v_fma_f16 v20, v20, v4, -v53
	v_add_f16_e32 v46, v46, v35
	v_add_f16_e32 v45, v45, v19
	v_mul_f16_sdwa v56, v21, v5 dst_sel:DWORD dst_unused:UNUSED_PAD src0_sel:DWORD src1_sel:WORD_1
	v_mul_f16_sdwa v57, v40, v6 dst_sel:DWORD dst_unused:UNUSED_PAD src0_sel:DWORD src1_sel:WORD_1
	v_fma_f16 v37, v37, v3, v52
	v_fma_f16 v21, v21, v5, -v55
	v_add_f16_e32 v46, v46, v36
	;; [unrolled: 6-line block ×3, first 2 shown]
	v_add_f16_e32 v45, v45, v21
	v_mul_f16_sdwa v60, v23, v7 dst_sel:DWORD dst_unused:UNUSED_PAD src0_sel:DWORD src1_sel:WORD_1
	s_waitcnt vmcnt(0)
	v_mul_f16_sdwa v61, v42, v9 dst_sel:DWORD dst_unused:UNUSED_PAD src0_sel:DWORD src1_sel:WORD_1
	v_fma_f16 v39, v39, v5, v56
	v_fma_f16 v23, v23, v7, -v59
	v_add_f16_e32 v46, v46, v38
	v_add_f16_e32 v45, v45, v22
	v_mul_f16_sdwa v62, v24, v9 dst_sel:DWORD dst_unused:UNUSED_PAD src0_sel:DWORD src1_sel:WORD_1
	v_mul_f16_sdwa v63, v43, v10 dst_sel:DWORD dst_unused:UNUSED_PAD src0_sel:DWORD src1_sel:WORD_1
	;; [unrolled: 1-line block ×3, first 2 shown]
	v_fma_f16 v40, v40, v6, v58
	v_fma_f16 v24, v24, v9, -v61
	v_add_f16_e32 v46, v46, v39
	v_add_f16_e32 v45, v45, v23
	v_fma_f16 v41, v41, v7, v60
	v_fma_f16 v11, v11, v10, -v63
	v_fma_f16 v43, v43, v10, v64
	v_add_f16_e32 v46, v46, v40
	v_add_f16_e32 v45, v45, v24
	v_fma_f16 v42, v42, v9, v62
	v_add_f16_e32 v47, v16, v11
	v_add_f16_e32 v46, v46, v41
	;; [unrolled: 1-line block ×3, first 2 shown]
	v_sub_f16_e32 v11, v16, v11
	v_sub_f16_e32 v16, v26, v43
	v_add_f16_e32 v46, v46, v42
	v_add_f16_e32 v48, v26, v43
	v_mul_f16_e32 v26, 0xb853, v16
	v_mul_f16_e32 v49, 0xb853, v11
	;; [unrolled: 1-line block ×10, first 2 shown]
	v_add_f16_e32 v46, v46, v43
	v_fma_f16 v43, v47, s16, -v26
	v_fma_f16 v50, v48, s16, v49
	v_fma_f16 v26, v47, s16, v26
	v_fma_f16 v49, v48, s16, -v49
	v_fma_f16 v52, v47, s4, -v51
	v_fma_f16 v54, v48, s4, v53
	v_fma_f16 v51, v47, s4, v51
	v_fma_f16 v53, v48, s4, -v53
	;; [unrolled: 4-line block ×5, first 2 shown]
	v_add_f16_e32 v43, v15, v43
	v_add_f16_sdwa v50, v15, v50 dst_sel:DWORD dst_unused:UNUSED_PAD src0_sel:WORD_1 src1_sel:DWORD
	v_add_f16_e32 v26, v15, v26
	v_add_f16_sdwa v49, v15, v49 dst_sel:DWORD dst_unused:UNUSED_PAD src0_sel:WORD_1 src1_sel:DWORD
	;; [unrolled: 2-line block ×10, first 2 shown]
	v_add_f16_e32 v15, v17, v24
	v_sub_f16_e32 v17, v17, v24
	v_sub_f16_e32 v24, v35, v42
	v_add_f16_e32 v47, v35, v42
	v_mul_f16_e32 v35, 0xbb47, v24
	v_fma_f16 v42, v15, s4, -v35
	v_add_f16_e32 v42, v42, v43
	v_mul_f16_e32 v43, 0xbb47, v17
	v_fma_f16 v35, v15, s4, v35
	v_fma_f16 v48, v47, s4, v43
	v_add_f16_e32 v26, v35, v26
	v_fma_f16 v35, v47, s4, -v43
	v_mul_f16_e32 v43, 0xba0c, v24
	v_add_f16_e32 v48, v48, v50
	v_add_f16_e32 v35, v35, v49
	v_fma_f16 v49, v15, s17, -v43
	v_mul_f16_e32 v50, 0xba0c, v17
	v_fma_f16 v43, v15, s17, v43
	v_add_f16_e32 v49, v49, v52
	v_fma_f16 v52, v47, s17, v50
	v_add_f16_e32 v43, v43, v51
	v_fma_f16 v50, v47, s17, -v50
	v_mul_f16_e32 v51, 0x3482, v24
	v_add_f16_e32 v52, v52, v54
	v_add_f16_e32 v50, v50, v53
	v_fma_f16 v53, v15, s18, -v51
	v_mul_f16_e32 v54, 0x3482, v17
	v_fma_f16 v51, v15, s18, v51
	v_add_f16_e32 v53, v53, v56
	v_fma_f16 v56, v47, s18, v54
	v_add_f16_e32 v51, v51, v55
	v_fma_f16 v54, v47, s18, -v54
	v_mul_f16_e32 v55, 0x3beb, v24
	v_add_f16_e32 v54, v54, v57
	v_fma_f16 v57, v15, s5, -v55
	v_fma_f16 v55, v15, s5, v55
	v_mul_f16_e32 v24, 0x3853, v24
	v_add_f16_e32 v56, v56, v58
	v_mul_f16_e32 v58, 0x3beb, v17
	v_add_f16_e32 v55, v55, v59
	v_fma_f16 v59, v15, s16, -v24
	v_mul_f16_e32 v17, 0x3853, v17
	v_fma_f16 v15, v15, s16, v24
	v_add_f16_e32 v15, v15, v16
	v_fma_f16 v16, v47, s16, -v17
	v_add_f16_e32 v11, v16, v11
	v_add_f16_e32 v16, v18, v23
	v_sub_f16_e32 v18, v18, v23
	v_sub_f16_e32 v23, v36, v41
	v_add_f16_e32 v57, v57, v60
	v_fma_f16 v60, v47, s5, v58
	v_fma_f16 v58, v47, s5, -v58
	v_mul_f16_e32 v24, 0xbbeb, v23
	v_add_f16_e32 v58, v58, v61
	v_fma_f16 v61, v47, s16, v17
	v_add_f16_e32 v17, v36, v41
	v_fma_f16 v36, v16, s5, -v24
	v_mul_f16_e32 v41, 0xbbeb, v18
	v_fma_f16 v24, v16, s5, v24
	v_add_f16_e32 v24, v24, v26
	v_fma_f16 v26, v17, s5, -v41
	v_add_f16_e32 v26, v26, v35
	v_mul_f16_e32 v35, 0x3482, v23
	v_add_f16_e32 v36, v36, v42
	v_fma_f16 v42, v17, s5, v41
	v_fma_f16 v41, v16, s18, -v35
	v_mul_f16_e32 v47, 0x3482, v18
	v_fma_f16 v35, v16, s18, v35
	v_add_f16_e32 v42, v42, v48
	v_fma_f16 v48, v17, s18, v47
	v_add_f16_e32 v35, v35, v43
	v_fma_f16 v43, v17, s18, -v47
	v_mul_f16_e32 v47, 0x3b47, v23
	v_add_f16_e32 v41, v41, v49
	v_fma_f16 v49, v16, s4, -v47
	v_fma_f16 v47, v16, s4, v47
	v_add_f16_e32 v43, v43, v50
	v_mul_f16_e32 v50, 0x3b47, v18
	v_add_f16_e32 v47, v47, v51
	v_mul_f16_e32 v51, 0xb853, v23
	v_add_f16_e32 v48, v48, v52
	v_add_f16_e32 v49, v49, v53
	v_fma_f16 v52, v17, s4, v50
	v_fma_f16 v50, v17, s4, -v50
	v_fma_f16 v53, v16, s16, -v51
	v_fma_f16 v51, v16, s16, v51
	v_mul_f16_e32 v23, 0xba0c, v23
	v_add_f16_e32 v50, v50, v54
	v_mul_f16_e32 v54, 0xb853, v18
	v_add_f16_e32 v51, v51, v55
	v_fma_f16 v55, v16, s17, -v23
	v_mul_f16_e32 v18, 0xba0c, v18
	v_fma_f16 v16, v16, s17, v23
	v_add_f16_e32 v15, v16, v15
	v_fma_f16 v16, v17, s17, -v18
	v_add_f16_e32 v53, v53, v57
	v_fma_f16 v57, v17, s17, v18
	v_add_f16_e32 v11, v16, v11
	v_add_f16_e32 v16, v19, v22
	v_sub_f16_e32 v18, v19, v22
	v_sub_f16_e32 v19, v37, v40
	v_mul_f16_e32 v22, 0xba0c, v19
	v_fma_f16 v23, v16, s17, -v22
	v_add_f16_e32 v52, v52, v56
	v_fma_f16 v56, v17, s16, v54
	v_fma_f16 v54, v17, s16, -v54
	v_add_f16_e32 v17, v37, v40
	v_add_f16_e32 v23, v23, v36
	v_mul_f16_e32 v36, 0xba0c, v18
	v_fma_f16 v22, v16, s17, v22
	v_add_f16_e32 v22, v22, v24
	v_fma_f16 v24, v17, s17, -v36
	v_add_f16_e32 v24, v24, v26
	v_mul_f16_e32 v26, 0x3beb, v19
	v_fma_f16 v37, v17, s17, v36
	v_fma_f16 v36, v16, s5, -v26
	v_mul_f16_e32 v40, 0x3beb, v18
	v_fma_f16 v26, v16, s5, v26
	v_add_f16_e32 v36, v36, v41
	v_fma_f16 v41, v17, s5, v40
	v_add_f16_e32 v26, v26, v35
	v_fma_f16 v35, v17, s5, -v40
	v_mul_f16_e32 v40, 0xb853, v19
	v_add_f16_e32 v37, v37, v42
	v_fma_f16 v42, v16, s16, -v40
	v_fma_f16 v40, v16, s16, v40
	v_add_f16_e32 v35, v35, v43
	v_mul_f16_e32 v43, 0xb853, v18
	v_add_f16_e32 v40, v40, v47
	v_mul_f16_e32 v47, 0xb482, v19
	v_add_f16_e32 v41, v41, v48
	v_add_f16_e32 v42, v42, v49
	v_fma_f16 v48, v17, s16, v43
	v_fma_f16 v43, v17, s16, -v43
	v_fma_f16 v49, v16, s18, -v47
	v_fma_f16 v47, v16, s18, v47
	v_mul_f16_e32 v19, 0x3b47, v19
	v_add_f16_e32 v43, v43, v50
	v_mul_f16_e32 v50, 0xb482, v18
	v_add_f16_e32 v47, v47, v51
	v_fma_f16 v51, v16, s4, -v19
	v_mul_f16_e32 v18, 0x3b47, v18
	v_fma_f16 v16, v16, s4, v19
	v_add_f16_e32 v48, v48, v52
	v_add_f16_e32 v49, v49, v53
	v_fma_f16 v52, v17, s18, v50
	v_fma_f16 v50, v17, s18, -v50
	v_fma_f16 v53, v17, s4, v18
	v_add_f16_e32 v15, v16, v15
	v_fma_f16 v16, v17, s4, -v18
	v_add_f16_e32 v17, v20, v21
	v_sub_f16_e32 v19, v20, v21
	v_sub_f16_e32 v20, v38, v39
	v_add_f16_e32 v16, v16, v11
	v_mul_f16_e32 v11, 0xb482, v20
	v_fma_f16 v21, v17, s18, -v11
	v_add_f16_e32 v18, v38, v39
	v_add_f16_e32 v21, v21, v23
	v_mul_f16_e32 v23, 0xb482, v19
	v_fma_f16 v11, v17, s18, v11
	v_add_f16_e32 v54, v54, v58
	v_add_f16_e32 v11, v11, v22
	v_fma_f16 v22, v18, s18, -v23
	v_add_f16_e32 v50, v50, v54
	v_add_f16_e32 v54, v22, v24
	v_mul_f16_e32 v22, 0x3853, v20
	v_fma_f16 v38, v18, s18, v23
	v_fma_f16 v23, v17, s16, -v22
	v_mul_f16_e32 v24, 0x3853, v19
	v_fma_f16 v22, v17, s16, v22
	v_add_f16_e32 v38, v38, v37
	v_add_f16_e32 v23, v23, v36
	v_fma_f16 v36, v18, s16, v24
	v_add_f16_e32 v22, v22, v26
	v_fma_f16 v24, v18, s16, -v24
	v_mul_f16_e32 v26, 0xba0c, v20
	v_mul_f16_e32 v37, 0xba0c, v19
	v_add_f16_e32 v24, v24, v35
	v_fma_f16 v35, v17, s17, -v26
	v_fma_f16 v39, v18, s17, v37
	v_fma_f16 v26, v17, s17, v26
	v_fma_f16 v37, v18, s17, -v37
	v_add_f16_e32 v26, v26, v40
	v_add_f16_e32 v40, v37, v43
	v_mul_f16_e32 v37, 0x3b47, v20
	v_add_f16_e32 v36, v36, v41
	v_add_f16_e32 v35, v35, v42
	v_fma_f16 v41, v17, s4, -v37
	v_mul_f16_e32 v42, 0x3b47, v19
	v_fma_f16 v37, v17, s4, v37
	v_add_f16_e32 v47, v37, v47
	v_fma_f16 v37, v18, s4, -v42
	v_mul_f16_e32 v20, 0xbbeb, v20
	v_fma_f16 v43, v18, s4, v42
	;; [unrolled: 4-line block ×3, first 2 shown]
	v_add_f16_e32 v59, v59, v63
	v_add_f16_e32 v15, v17, v15
	v_fma_f16 v17, v18, s5, -v19
	v_add_f16_e32 v61, v61, v64
	v_add_f16_e32 v55, v55, v59
	;; [unrolled: 1-line block ×3, first 2 shown]
	v_mov_b32_e32 v17, 0x8f
	v_add_f16_e32 v60, v60, v62
	v_add_f16_e32 v57, v57, v61
	;; [unrolled: 1-line block ×3, first 2 shown]
	v_cndmask_b32_e32 v17, 0, v17, vcc
	v_add_f16_e32 v56, v56, v60
	v_add_f16_e32 v53, v53, v57
	;; [unrolled: 1-line block ×4, first 2 shown]
	v_fma_f16 v37, v18, s5, v19
	v_add_u32_e32 v17, v25, v17
	v_add_f16_e32 v52, v52, v56
	v_add_f16_e32 v41, v41, v49
	;; [unrolled: 1-line block ×3, first 2 shown]
	v_add_lshl_u32 v37, v29, v17, 2
	v_pack_b32_f16 v17, v45, v46
	v_pack_b32_f16 v18, v21, v38
	v_pack_b32_f16 v15, v15, v16
	v_pack_b32_f16 v16, v47, v42
	v_add_f16_e32 v43, v43, v52
	ds_write2_b32 v37, v17, v18 offset1:13
	v_pack_b32_f16 v17, v23, v36
	v_pack_b32_f16 v18, v35, v39
	ds_write2_b32 v37, v15, v16 offset0:78 offset1:91
	v_pack_b32_f16 v15, v26, v40
	v_pack_b32_f16 v16, v22, v24
	ds_write2_b32 v37, v17, v18 offset0:26 offset1:39
	;; [unrolled: 3-line block ×3, first 2 shown]
	v_pack_b32_f16 v15, v11, v54
	ds_write2_b32 v37, v17, v18 offset0:52 offset1:65
	ds_write_b32 v37, v15 offset:520
	s_waitcnt lgkmcnt(0)
	; wave barrier
	s_waitcnt lgkmcnt(0)
	ds_read2_b32 v[23:24], v31 offset1:26
	ds_read2_b32 v[21:22], v31 offset0:104 offset1:143
	ds_read2_b32 v[15:16], v31 offset0:169 offset1:195
	;; [unrolled: 1-line block ×4, first 2 shown]
	s_and_saveexec_b64 s[4:5], s[2:3]
	s_cbranch_execz .LBB0_9
; %bb.8:
	v_add_u32_e32 v11, 0x200, v31
	ds_read2_b32 v[11:12], v11 offset0:2 offset1:145
	v_add_co_u32_e32 v13, vcc, 0x82, v28
	v_addc_co_u32_e64 v14, s[16:17], 0, 0, vcc
	s_waitcnt lgkmcnt(0)
	v_lshrrev_b32_e32 v54, 16, v11
	v_lshrrev_b32_e32 v44, 16, v12
.LBB0_9:
	s_or_b64 exec, exec, s[4:5]
	v_lshlrev_b64 v[13:14], 2, v[13:14]
	global_load_dword v38, v27, s[14:15] offset:520
	global_load_dword v39, v27, s[14:15] offset:624
	;; [unrolled: 1-line block ×5, first 2 shown]
	v_mov_b32_e32 v19, s15
	v_add_co_u32_e32 v13, vcc, s14, v13
	v_addc_co_u32_e32 v14, vcc, v19, v14, vcc
	global_load_dword v36, v[13:14], off offset:520
	s_waitcnt lgkmcnt(3)
	v_lshrrev_b32_e32 v13, 16, v22
	s_waitcnt lgkmcnt(2)
	v_lshrrev_b32_e32 v14, 16, v15
	v_lshrrev_b32_e32 v20, 16, v16
	s_waitcnt lgkmcnt(0)
	v_lshrrev_b32_e32 v46, 16, v18
	v_lshrrev_b32_e32 v45, 16, v17
	;; [unrolled: 1-line block ×7, first 2 shown]
	v_lshl_add_u32 v35, v28, 2, v30
	v_add_u32_e32 v43, v27, v30
	s_waitcnt vmcnt(5)
	v_mul_f16_sdwa v47, v13, v38 dst_sel:DWORD dst_unused:UNUSED_PAD src0_sel:DWORD src1_sel:WORD_1
	v_mul_f16_sdwa v48, v22, v38 dst_sel:DWORD dst_unused:UNUSED_PAD src0_sel:DWORD src1_sel:WORD_1
	s_waitcnt vmcnt(4)
	v_mul_f16_sdwa v51, v14, v39 dst_sel:DWORD dst_unused:UNUSED_PAD src0_sel:DWORD src1_sel:WORD_1
	v_mul_f16_sdwa v52, v15, v39 dst_sel:DWORD dst_unused:UNUSED_PAD src0_sel:DWORD src1_sel:WORD_1
	;; [unrolled: 3-line block ×4, first 2 shown]
	v_mul_f16_sdwa v58, v45, v41 dst_sel:DWORD dst_unused:UNUSED_PAD src0_sel:DWORD src1_sel:WORD_1
	v_mul_f16_sdwa v59, v17, v41 dst_sel:DWORD dst_unused:UNUSED_PAD src0_sel:DWORD src1_sel:WORD_1
	v_fma_f16 v22, v22, v38, -v47
	v_fma_f16 v13, v13, v38, v48
	v_fma_f16 v15, v15, v39, -v51
	v_fma_f16 v47, v14, v39, v52
	;; [unrolled: 2-line block ×5, first 2 shown]
	v_sub_f16_e32 v14, v23, v22
	v_sub_f16_e32 v46, v19, v13
	;; [unrolled: 1-line block ×8, first 2 shown]
	s_waitcnt vmcnt(0)
	v_mul_f16_sdwa v56, v44, v36 dst_sel:DWORD dst_unused:UNUSED_PAD src0_sel:DWORD src1_sel:WORD_1
	v_mul_f16_sdwa v57, v12, v36 dst_sel:DWORD dst_unused:UNUSED_PAD src0_sel:DWORD src1_sel:WORD_1
	v_sub_f16_e32 v20, v26, v17
	v_sub_f16_e32 v51, v53, v45
	v_fma_f16 v13, v23, 2.0, -v14
	v_fma_f16 v45, v19, 2.0, -v46
	v_fma_f16 v15, v24, 2.0, -v16
	v_fma_f16 v49, v49, 2.0, -v47
	v_fma_f16 v17, v25, 2.0, -v18
	v_pack_b32_f16 v24, v16, v47
	v_pack_b32_f16 v25, v18, v48
	v_fma_f16 v12, v12, v36, -v56
	v_fma_f16 v44, v44, v36, v57
	v_fma_f16 v50, v50, 2.0, -v48
	v_fma_f16 v19, v26, 2.0, -v20
	;; [unrolled: 1-line block ×5, first 2 shown]
	v_pack_b32_f16 v23, v14, v46
	v_pack_b32_f16 v55, v20, v51
	;; [unrolled: 1-line block ×4, first 2 shown]
	ds_write2_b32 v35, v24, v25 offset0:169 offset1:195
	v_sub_f16_e32 v24, v11, v12
	v_sub_f16_e32 v12, v54, v44
	v_pack_b32_f16 v58, v22, v52
	v_pack_b32_f16 v59, v17, v50
	;; [unrolled: 1-line block ×3, first 2 shown]
	ds_write_b32 v35, v55 offset:884
	v_pack_b32_f16 v55, v21, v53
	ds_write2_b32 v35, v56, v57 offset1:26
	ds_write2_b32 v35, v59, v25 offset0:52 offset1:78
	ds_write2_b32 v35, v55, v23 offset0:104 offset1:143
	v_fma_f16 v23, v11, 2.0, -v24
	v_fma_f16 v44, v54, 2.0, -v12
	ds_write_b32 v43, v58 offset:988
	s_and_saveexec_b64 s[4:5], s[2:3]
	s_cbranch_execz .LBB0_11
; %bb.10:
	s_mov_b32 s14, 0x5040100
	v_perm_b32 v11, v44, v23, s14
	v_perm_b32 v25, v12, v24, s14
	v_add_u32_e32 v54, 0x200, v35
	ds_write2_b32 v54, v11, v25 offset0:2 offset1:145
.LBB0_11:
	s_or_b64 exec, exec, s[4:5]
	s_waitcnt lgkmcnt(0)
	; wave barrier
	s_waitcnt lgkmcnt(0)
	s_and_saveexec_b64 s[4:5], s[0:1]
	s_cbranch_execz .LBB0_13
; %bb.12:
	global_load_dword v11, v27, s[6:7] offset:1144
	s_add_u32 s14, s6, 0x478
	s_addc_u32 s15, s7, 0
	global_load_dword v25, v27, s[14:15] offset:88
	global_load_dword v66, v27, s[14:15] offset:176
	;; [unrolled: 1-line block ×11, first 2 shown]
	ds_read2_b32 v[54:55], v35 offset1:22
	ds_read2_b32 v[56:57], v35 offset0:44 offset1:66
	ds_read2_b32 v[58:59], v35 offset0:88 offset1:110
	ds_read2_b32 v[60:61], v35 offset0:132 offset1:154
	ds_read2_b32 v[62:63], v35 offset0:176 offset1:198
	ds_read2_b32 v[64:65], v35 offset0:220 offset1:242
	global_load_dword v76, v27, s[14:15] offset:1056
	s_waitcnt lgkmcnt(5)
	v_lshrrev_b32_e32 v77, 16, v54
	v_lshrrev_b32_e32 v78, 16, v55
	s_waitcnt lgkmcnt(4)
	v_lshrrev_b32_e32 v79, 16, v56
	v_lshrrev_b32_e32 v80, 16, v57
	;; [unrolled: 3-line block ×5, first 2 shown]
	s_waitcnt vmcnt(9)
	v_mul_f16_sdwa v89, v80, v67 dst_sel:DWORD dst_unused:UNUSED_PAD src0_sel:DWORD src1_sel:WORD_1
	v_mul_f16_sdwa v90, v57, v67 dst_sel:DWORD dst_unused:UNUSED_PAD src0_sel:DWORD src1_sel:WORD_1
	s_waitcnt vmcnt(8)
	v_mul_f16_sdwa v91, v81, v68 dst_sel:DWORD dst_unused:UNUSED_PAD src0_sel:DWORD src1_sel:WORD_1
	v_mul_f16_sdwa v92, v58, v68 dst_sel:DWORD dst_unused:UNUSED_PAD src0_sel:DWORD src1_sel:WORD_1
	;; [unrolled: 3-line block ×3, first 2 shown]
	v_mul_f16_sdwa v88, v54, v11 dst_sel:DWORD dst_unused:UNUSED_PAD src0_sel:DWORD src1_sel:WORD_1
	v_fma_f16 v54, v54, v11, -v87
	v_fma_f16 v11, v77, v11, v88
	v_pack_b32_f16 v11, v54, v11
	v_mul_f16_sdwa v54, v78, v25 dst_sel:DWORD dst_unused:UNUSED_PAD src0_sel:DWORD src1_sel:WORD_1
	v_mul_f16_sdwa v77, v55, v25 dst_sel:DWORD dst_unused:UNUSED_PAD src0_sel:DWORD src1_sel:WORD_1
	v_mul_f16_sdwa v87, v79, v66 dst_sel:DWORD dst_unused:UNUSED_PAD src0_sel:DWORD src1_sel:WORD_1
	v_mul_f16_sdwa v88, v56, v66 dst_sel:DWORD dst_unused:UNUSED_PAD src0_sel:DWORD src1_sel:WORD_1
	v_mul_f16_sdwa v94, v59, v69 dst_sel:DWORD dst_unused:UNUSED_PAD src0_sel:DWORD src1_sel:WORD_1
	s_waitcnt vmcnt(6)
	v_mul_f16_sdwa v95, v83, v70 dst_sel:DWORD dst_unused:UNUSED_PAD src0_sel:DWORD src1_sel:WORD_1
	v_mul_f16_sdwa v96, v60, v70 dst_sel:DWORD dst_unused:UNUSED_PAD src0_sel:DWORD src1_sel:WORD_1
	s_waitcnt vmcnt(5)
	v_mul_f16_sdwa v97, v84, v71 dst_sel:DWORD dst_unused:UNUSED_PAD src0_sel:DWORD src1_sel:WORD_1
	v_mul_f16_sdwa v98, v61, v71 dst_sel:DWORD dst_unused:UNUSED_PAD src0_sel:DWORD src1_sel:WORD_1
	;; [unrolled: 3-line block ×4, first 2 shown]
	v_fma_f16 v54, v55, v25, -v54
	v_fma_f16 v25, v78, v25, v77
	v_fma_f16 v55, v56, v66, -v87
	v_fma_f16 v56, v79, v66, v88
	;; [unrolled: 2-line block ×9, first 2 shown]
	v_pack_b32_f16 v25, v54, v25
	v_pack_b32_f16 v54, v55, v56
	;; [unrolled: 1-line block ×9, first 2 shown]
	ds_write2_b32 v35, v11, v25 offset1:22
	ds_write2_b32 v35, v54, v55 offset0:44 offset1:66
	ds_write2_b32 v35, v56, v57 offset0:88 offset1:110
	;; [unrolled: 1-line block ×4, first 2 shown]
	s_waitcnt lgkmcnt(5)
	v_lshrrev_b32_e32 v11, 16, v64
	s_waitcnt vmcnt(2)
	v_mul_f16_sdwa v25, v11, v74 dst_sel:DWORD dst_unused:UNUSED_PAD src0_sel:DWORD src1_sel:WORD_1
	v_mul_f16_sdwa v54, v64, v74 dst_sel:DWORD dst_unused:UNUSED_PAD src0_sel:DWORD src1_sel:WORD_1
	v_fma_f16 v25, v64, v74, -v25
	v_fma_f16 v11, v11, v74, v54
	ds_read_b32 v55, v35 offset:1056
	v_pack_b32_f16 v11, v25, v11
	v_lshrrev_b32_e32 v25, 16, v65
	s_waitcnt vmcnt(1)
	v_mul_f16_sdwa v54, v25, v75 dst_sel:DWORD dst_unused:UNUSED_PAD src0_sel:DWORD src1_sel:WORD_1
	v_mul_f16_sdwa v56, v65, v75 dst_sel:DWORD dst_unused:UNUSED_PAD src0_sel:DWORD src1_sel:WORD_1
	v_fma_f16 v54, v65, v75, -v54
	v_fma_f16 v25, v25, v75, v56
	v_pack_b32_f16 v25, v54, v25
	ds_write2_b32 v35, v11, v25 offset0:220 offset1:242
	s_waitcnt lgkmcnt(1)
	v_lshrrev_b32_e32 v11, 16, v55
	s_waitcnt vmcnt(0)
	v_mul_f16_sdwa v25, v11, v76 dst_sel:DWORD dst_unused:UNUSED_PAD src0_sel:DWORD src1_sel:WORD_1
	v_mul_f16_sdwa v54, v55, v76 dst_sel:DWORD dst_unused:UNUSED_PAD src0_sel:DWORD src1_sel:WORD_1
	v_fma_f16 v25, v55, v76, -v25
	v_fma_f16 v11, v11, v76, v54
	v_pack_b32_f16 v11, v25, v11
	ds_write_b32 v35, v11 offset:1056
.LBB0_13:
	s_or_b64 exec, exec, s[4:5]
	s_waitcnt lgkmcnt(0)
	; wave barrier
	s_waitcnt lgkmcnt(0)
	s_and_saveexec_b64 s[4:5], s[0:1]
	s_cbranch_execz .LBB0_15
; %bb.14:
	ds_read2_b32 v[13:14], v35 offset1:22
	ds_read2_b32 v[15:16], v35 offset0:44 offset1:66
	ds_read2_b32 v[17:18], v35 offset0:88 offset1:110
	;; [unrolled: 1-line block ×5, first 2 shown]
	ds_read_b32 v33, v35 offset:1056
	s_waitcnt lgkmcnt(6)
	v_lshrrev_b32_e32 v45, 16, v13
	v_lshrrev_b32_e32 v46, 16, v14
	s_waitcnt lgkmcnt(5)
	v_lshrrev_b32_e32 v49, 16, v15
	v_lshrrev_b32_e32 v47, 16, v16
	;; [unrolled: 3-line block ×6, first 2 shown]
	s_waitcnt lgkmcnt(0)
	v_lshrrev_b32_e32 v34, 16, v33
.LBB0_15:
	s_or_b64 exec, exec, s[4:5]
	v_sub_f16_e32 v65, v46, v34
	v_add_f16_e32 v54, v33, v14
	v_add_f16_e32 v68, v34, v46
	s_movk_i32 s14, 0x388b
	v_mul_f16_e32 v72, 0xba95, v65
	v_sub_f16_e32 v67, v49, v12
	v_sub_f16_e32 v56, v14, v33
	s_mov_b32 s16, 0xba95
	v_mul_f16_e32 v78, 0x388b, v68
	v_fma_f16 v11, v54, s14, -v72
	v_add_f16_e32 v55, v24, v15
	v_add_f16_e32 v70, v12, v49
	s_mov_b32 s15, 0xb5ac
	v_mul_f16_e32 v75, 0xbb7b, v67
	v_add_f16_e32 v11, v13, v11
	v_fma_f16 v25, v56, s16, v78
	v_sub_f16_e32 v58, v15, v24
	s_mov_b32 s18, 0xbb7b
	v_mul_f16_e32 v81, 0xb5ac, v70
	v_fma_f16 v57, v55, s15, -v75
	v_add_f16_e32 v25, v45, v25
	v_add_f16_e32 v11, v57, v11
	v_fma_f16 v57, v58, s18, v81
	v_sub_f16_e32 v69, v47, v44
	v_add_f16_e32 v25, v57, v25
	v_add_f16_e32 v57, v23, v16
	;; [unrolled: 1-line block ×3, first 2 shown]
	s_mov_b32 s17, 0xbbc4
	v_mul_f16_e32 v80, 0xb3a8, v69
	v_sub_f16_e32 v60, v16, v23
	s_mov_b32 s19, 0xb3a8
	v_mul_f16_e32 v84, 0xbbc4, v73
	v_fma_f16 v59, v57, s17, -v80
	v_add_f16_e32 v11, v59, v11
	v_fma_f16 v59, v60, s19, v84
	v_sub_f16_e32 v71, v50, v52
	v_add_f16_e32 v25, v59, v25
	v_add_f16_e32 v59, v22, v17
	;; [unrolled: 1-line block ×3, first 2 shown]
	s_mov_b32 s20, 0xb9fd
	v_mul_f16_e32 v83, 0x394e, v71
	v_sub_f16_e32 v62, v17, v22
	s_movk_i32 s23, 0x394e
	v_mul_f16_e32 v86, 0xb9fd, v76
	v_fma_f16 v61, v59, s20, -v83
	v_add_f16_e32 v11, v61, v11
	v_fma_f16 v61, v62, s23, v86
	v_sub_f16_e32 v74, v48, v53
	v_add_f16_e32 v25, v61, v25
	v_add_f16_e32 v61, v21, v18
	;; [unrolled: 1-line block ×3, first 2 shown]
	s_movk_i32 s21, 0x2fb7
	v_mul_f16_e32 v85, 0x3bf1, v74
	v_sub_f16_e32 v64, v18, v21
	s_movk_i32 s24, 0x3bf1
	v_mul_f16_e32 v88, 0x2fb7, v79
	v_fma_f16 v63, v61, s21, -v85
	v_add_f16_e32 v11, v63, v11
	v_fma_f16 v63, v64, s24, v88
	v_sub_f16_e32 v77, v26, v51
	v_add_f16_e32 v25, v63, v25
	v_add_f16_e32 v63, v20, v19
	;; [unrolled: 1-line block ×3, first 2 shown]
	s_movk_i32 s22, 0x3b15
	v_mul_f16_e32 v87, 0x3770, v77
	v_sub_f16_e32 v66, v19, v20
	s_movk_i32 s25, 0x3770
	v_mul_f16_e32 v89, 0x3b15, v82
	v_fma_f16 v90, v63, s22, -v87
	v_add_f16_e32 v11, v90, v11
	v_fma_f16 v90, v66, s25, v89
	v_add_f16_e32 v25, v90, v25
	s_waitcnt lgkmcnt(0)
	; wave barrier
	s_and_saveexec_b64 s[4:5], s[0:1]
	s_cbranch_execz .LBB0_17
; %bb.16:
	v_mul_f16_e32 v90, 0xbbf1, v56
	v_fma_f16 v91, v68, s21, v90
	v_mul_f16_e32 v92, 0xb3a8, v58
	v_add_f16_e32 v91, v45, v91
	v_fma_f16 v93, v70, s17, v92
	v_add_f16_e32 v91, v93, v91
	v_mul_f16_e32 v93, 0x3b7b, v60
	v_fma_f16 v94, v73, s15, v93
	v_add_f16_e32 v91, v94, v91
	v_mul_f16_e32 v94, 0x3770, v62
	v_fma_f16 v95, v76, s22, v94
	v_add_f16_e32 v91, v95, v91
	v_mul_f16_e32 v95, 0xba95, v64
	v_fma_f16 v96, v79, s14, v95
	v_add_f16_e32 v91, v96, v91
	v_mul_f16_e32 v96, 0xb94e, v66
	v_fma_f16 v97, v82, s20, v96
	v_add_f16_e32 v91, v97, v91
	v_mul_f16_e32 v97, 0xbbf1, v65
	v_fma_f16 v98, v54, s21, -v97
	v_mul_f16_e32 v99, 0xb3a8, v67
	v_add_f16_e32 v98, v13, v98
	v_fma_f16 v100, v55, s17, -v99
	v_add_f16_e32 v98, v100, v98
	v_mul_f16_e32 v100, 0x3b7b, v69
	v_fma_f16 v101, v57, s15, -v100
	v_add_f16_e32 v98, v101, v98
	v_mul_f16_e32 v101, 0x3770, v71
	v_fma_f16 v102, v59, s22, -v101
	v_add_f16_e32 v98, v102, v98
	v_mul_f16_e32 v102, 0xba95, v74
	v_fma_f16 v103, v61, s14, -v102
	v_add_f16_e32 v98, v103, v98
	v_mul_f16_e32 v103, 0xb94e, v77
	v_fma_f16 v104, v63, s20, -v103
	v_add_f16_e32 v98, v104, v98
	v_mul_f16_e32 v104, 0xbb7b, v56
	v_fma_f16 v105, v68, s15, v104
	v_mul_f16_e32 v106, 0x394e, v58
	v_add_f16_e32 v105, v45, v105
	v_fma_f16 v107, v70, s20, v106
	v_add_f16_e32 v105, v107, v105
	v_mul_f16_e32 v107, 0x3770, v60
	v_fma_f16 v108, v73, s22, v107
	v_add_f16_e32 v105, v108, v105
	v_mul_f16_e32 v108, 0xbbf1, v62
	v_fma_f16 v109, v76, s21, v108
	v_add_f16_e32 v105, v109, v105
	v_mul_f16_e32 v109, 0x33a8, v64
	v_fma_f16 v110, v79, s17, v109
	v_add_f16_e32 v105, v110, v105
	v_mul_f16_e32 v110, 0x3a95, v66
	v_fma_f16 v111, v82, s14, v110
	v_add_f16_e32 v105, v111, v105
	v_mul_f16_e32 v111, 0xbb7b, v65
	v_fma_f16 v112, v54, s15, -v111
	v_mul_f16_e32 v113, 0x394e, v67
	v_add_f16_e32 v112, v13, v112
	v_fma_f16 v114, v55, s20, -v113
	v_add_f16_e32 v112, v114, v112
	v_mul_f16_e32 v114, 0x3770, v69
	v_fma_f16 v115, v57, s22, -v114
	v_add_f16_e32 v112, v115, v112
	v_mul_f16_e32 v115, 0xbbf1, v71
	v_fma_f16 v116, v59, s21, -v115
	v_add_f16_e32 v112, v116, v112
	v_mul_f16_e32 v116, 0x33a8, v74
	v_fma_f16 v117, v61, s17, -v116
	v_add_f16_e32 v112, v117, v112
	v_mul_f16_e32 v117, 0x3a95, v77
	v_fma_f16 v118, v63, s14, -v117
	v_add_f16_e32 v112, v118, v112
	;; [unrolled: 36-line block ×3, first 2 shown]
	v_mul_f16_e32 v132, 0xb3a8, v56
	v_fma_f16 v133, v68, s17, v132
	v_mul_f16_e32 v134, 0x3770, v58
	v_add_f16_e32 v133, v45, v133
	v_fma_f16 v135, v70, s22, v134
	v_add_f16_e32 v133, v135, v133
	v_mul_f16_e32 v135, 0xb94e, v60
	v_fma_f16 v136, v73, s20, v135
	v_add_f16_e32 v133, v136, v133
	v_mul_f16_e32 v136, 0x3a95, v62
	;; [unrolled: 3-line block ×4, first 2 shown]
	v_fma_f16 v132, v68, s17, -v132
	v_fma_f16 v139, v82, s21, v138
	v_add_f16_e32 v132, v45, v132
	v_fma_f16 v134, v70, s22, -v134
	v_add_f16_e32 v133, v139, v133
	v_mul_f16_e32 v139, 0xb3a8, v65
	v_add_f16_e32 v132, v134, v132
	v_fma_f16 v134, v73, s20, -v135
	v_fma_f16 v140, v54, s17, -v139
	v_mul_f16_e32 v141, 0x3770, v67
	v_add_f16_e32 v132, v134, v132
	v_fma_f16 v134, v76, s14, -v136
	v_add_f16_e32 v140, v13, v140
	v_fma_f16 v142, v55, s22, -v141
	;; [unrolled: 2-line block ×3, first 2 shown]
	v_add_f16_e32 v140, v142, v140
	v_mul_f16_e32 v142, 0xb94e, v69
	v_add_f16_e32 v132, v134, v132
	v_fma_f16 v134, v82, s21, -v138
	v_fma_f16 v143, v57, s20, -v142
	v_add_f16_e32 v132, v134, v132
	v_fma_f16 v134, v54, s17, v139
	v_add_f16_e32 v140, v143, v140
	v_mul_f16_e32 v143, 0x3a95, v71
	v_add_f16_e32 v134, v13, v134
	v_fma_f16 v135, v55, s22, v141
	v_fma_f16 v144, v59, s14, -v143
	v_add_f16_e32 v134, v135, v134
	v_fma_f16 v135, v57, s20, v142
	v_fma_f16 v118, v68, s20, -v118
	v_add_f16_e32 v140, v144, v140
	v_mul_f16_e32 v144, 0xbb7b, v74
	v_add_f16_e32 v134, v135, v134
	v_fma_f16 v136, v59, s14, v143
	v_add_f16_e32 v118, v45, v118
	v_fma_f16 v120, v70, s21, -v120
	v_mul_f16_e32 v135, 0x388b, v54
	v_add_f16_e32 v134, v136, v134
	v_fma_f16 v137, v61, s15, v144
	v_add_f16_e32 v118, v120, v118
	v_fma_f16 v121, v73, s14, -v121
	v_add_f16_e32 v134, v137, v134
	v_mul_f16_e32 v137, 0xb5ac, v55
	v_add_f16_e32 v118, v121, v118
	v_fma_f16 v122, v76, s17, -v122
	v_add_f16_e32 v72, v135, v72
	v_add_f16_e32 v14, v14, v13
	v_mul_f16_e32 v120, 0xbbc4, v57
	v_add_f16_e32 v118, v122, v118
	v_fma_f16 v123, v79, s22, -v123
	v_fma_f16 v125, v54, s20, v125
	v_add_f16_e32 v72, v13, v72
	v_add_f16_e32 v75, v137, v75
	;; [unrolled: 1-line block ×4, first 2 shown]
	v_mul_f16_e32 v122, 0xb9fd, v59
	v_add_f16_e32 v118, v123, v118
	v_fma_f16 v124, v82, s15, -v124
	v_add_f16_e32 v125, v13, v125
	v_fma_f16 v127, v55, s21, v127
	v_add_f16_e32 v72, v75, v72
	v_add_f16_e32 v75, v120, v80
	;; [unrolled: 1-line block ×4, first 2 shown]
	v_mul_f16_e32 v124, 0x2fb7, v61
	v_add_f16_e32 v125, v127, v125
	v_fma_f16 v128, v57, s14, v128
	v_add_f16_e32 v72, v75, v72
	v_add_f16_e32 v75, v122, v83
	;; [unrolled: 1-line block ×4, first 2 shown]
	v_mul_f16_e32 v128, 0x3b15, v63
	v_add_f16_e32 v72, v75, v72
	v_add_f16_e32 v75, v124, v85
	v_add_f16_e32 v15, v50, v15
	v_fma_f16 v104, v68, s15, -v104
	v_fma_f16 v90, v68, s21, -v90
	v_add_f16_e32 v72, v75, v72
	v_add_f16_e32 v75, v128, v87
	v_mul_f16_e32 v68, 0x3b15, v68
	v_add_f16_e32 v15, v48, v15
	v_fma_f16 v145, v61, s15, -v144
	s_movk_i32 s30, 0x3a95
	v_add_f16_e32 v104, v45, v104
	v_fma_f16 v106, v70, s20, -v106
	v_add_f16_e32 v90, v45, v90
	v_fma_f16 v92, v70, s17, -v92
	v_add_f16_e32 v72, v75, v72
	v_fma_f16 v75, v56, s25, v68
	v_mul_f16_e32 v70, 0x388b, v70
	v_add_f16_e32 v15, v26, v15
	v_add_f16_e32 v140, v145, v140
	v_mul_f16_e32 v145, 0x3bf1, v77
	v_add_f16_e32 v104, v106, v104
	v_fma_f16 v106, v73, s22, -v107
	v_add_f16_e32 v90, v92, v90
	v_fma_f16 v92, v73, s15, -v93
	v_add_f16_e32 v75, v45, v75
	v_fma_f16 v80, v58, s30, v70
	v_mul_f16_e32 v73, 0x2fb7, v73
	v_add_f16_e32 v15, v51, v15
	v_mul_f16_e32 v136, 0xba95, v56
	v_fma_f16 v138, v63, s21, v145
	s_movk_i32 s27, 0x3b7b
	v_add_f16_e32 v104, v106, v104
	v_fma_f16 v106, v76, s21, -v108
	v_add_f16_e32 v90, v92, v90
	v_fma_f16 v92, v76, s22, -v94
	v_add_f16_e32 v75, v80, v75
	v_fma_f16 v80, v60, s24, v73
	v_mul_f16_e32 v76, 0xb5ac, v76
	v_add_f16_e32 v15, v53, v15
	v_add_f16_e32 v134, v138, v134
	v_mul_f16_e32 v138, 0xbb7b, v58
	v_add_f16_e32 v104, v106, v104
	v_fma_f16 v106, v79, s17, -v109
	v_add_f16_e32 v90, v92, v90
	v_fma_f16 v92, v79, s14, -v95
	v_sub_f16_e32 v78, v78, v136
	v_add_f16_e32 v75, v80, v75
	v_fma_f16 v80, v62, s27, v76
	v_mul_f16_e32 v79, 0xb9fd, v79
	v_add_f16_e32 v15, v52, v15
	v_mul_f16_e32 v121, 0xb3a8, v60
	v_add_f16_e32 v78, v45, v78
	v_sub_f16_e32 v81, v81, v138
	v_add_f16_e32 v75, v80, v75
	v_fma_f16 v80, v64, s23, v79
	s_mov_b32 s23, 0xb770
	v_add_f16_e32 v15, v44, v15
	v_mul_f16_e32 v123, 0x394e, v62
	v_add_f16_e32 v78, v81, v78
	v_sub_f16_e32 v81, v84, v121
	v_add_f16_e32 v12, v12, v15
	v_fma_f16 v15, v56, s23, v68
	v_mul_f16_e32 v127, 0x3bf1, v64
	v_fma_f16 v129, v59, s17, v129
	s_mov_b32 s26, 0xbbf1
	v_add_f16_e32 v78, v81, v78
	v_sub_f16_e32 v81, v86, v123
	v_add_f16_e32 v14, v16, v14
	v_add_f16_e32 v15, v45, v15
	v_fma_f16 v16, v58, s16, v70
	v_add_f16_e32 v125, v129, v125
	v_mul_f16_e32 v129, 0x3770, v66
	v_add_f16_e32 v78, v81, v78
	v_sub_f16_e32 v81, v88, v127
	v_add_f16_e32 v15, v16, v15
	v_fma_f16 v16, v60, s26, v73
	s_mov_b32 s28, 0xb94e
	s_movk_i32 s29, 0x33a8
	v_add_f16_e32 v78, v81, v78
	v_sub_f16_e32 v81, v89, v129
	v_add_f16_e32 v75, v80, v75
	v_mul_f16_e32 v80, 0xbbc4, v82
	v_add_f16_e32 v14, v17, v14
	v_add_f16_e32 v15, v16, v15
	v_fma_f16 v16, v62, s18, v76
	v_add_f16_e32 v78, v81, v78
	v_fma_f16 v81, v66, s29, v80
	v_mul_f16_e32 v65, 0xb770, v65
	v_add_f16_e32 v14, v18, v14
	v_add_f16_e32 v15, v16, v15
	v_fma_f16 v16, v64, s28, v79
	v_add_f16_e32 v104, v106, v104
	v_fma_f16 v106, v82, s14, -v110
	v_add_f16_e32 v90, v92, v90
	v_fma_f16 v92, v82, s20, -v96
	v_add_f16_e32 v75, v81, v75
	v_fma_f16 v81, v54, s22, v65
	v_mul_f16_e32 v67, 0xba95, v67
	v_add_f16_e32 v14, v19, v14
	v_add_f16_e32 v15, v16, v15
	v_fma_f16 v16, v66, s19, v80
	v_add_f16_e32 v104, v106, v104
	v_fma_f16 v106, v54, s15, v111
	;; [unrolled: 2-line block ×4, first 2 shown]
	v_mul_f16_e32 v69, 0xbbf1, v69
	v_add_f16_e32 v14, v20, v14
	v_add_f16_e32 v15, v16, v15
	v_fma_f16 v16, v54, s22, -v65
	v_add_f16_e32 v106, v13, v106
	v_add_f16_e32 v92, v13, v92
	v_fma_f16 v93, v55, s17, v99
	v_add_f16_e32 v81, v82, v81
	v_fma_f16 v82, v57, s21, v69
	v_mul_f16_e32 v71, 0xbb7b, v71
	v_add_f16_e32 v14, v21, v14
	v_add_f16_e32 v13, v13, v16
	v_fma_f16 v16, v55, s14, -v67
	v_fma_f16 v107, v55, s20, v113
	v_add_f16_e32 v92, v93, v92
	v_fma_f16 v93, v57, s15, v100
	v_add_f16_e32 v81, v82, v81
	v_fma_f16 v82, v59, s15, v71
	v_mul_f16_e32 v74, 0xb94e, v74
	v_add_f16_e32 v14, v22, v14
	v_add_f16_e32 v13, v16, v13
	v_fma_f16 v16, v57, s21, -v69
	v_add_f16_e32 v106, v107, v106
	v_fma_f16 v107, v57, s22, v114
	v_add_f16_e32 v92, v93, v92
	v_fma_f16 v93, v59, s22, v101
	;; [unrolled: 2-line block ×3, first 2 shown]
	v_mul_f16_e32 v77, 0xb3a8, v77
	v_add_f16_e32 v14, v23, v14
	v_add_f16_e32 v13, v16, v13
	v_fma_f16 v16, v59, s15, -v71
	v_add_f16_e32 v106, v107, v106
	v_fma_f16 v107, v59, s21, v115
	v_add_f16_e32 v92, v93, v92
	v_fma_f16 v93, v61, s14, v102
	;; [unrolled: 2-line block ×3, first 2 shown]
	v_add_f16_e32 v14, v24, v14
	v_add_f16_e32 v13, v16, v13
	v_fma_f16 v16, v61, s20, -v74
	v_fma_f16 v130, v61, s22, v130
	v_add_f16_e32 v106, v107, v106
	v_fma_f16 v107, v61, s17, v116
	v_add_f16_e32 v92, v93, v92
	;; [unrolled: 2-line block ×3, first 2 shown]
	v_add_f16_e32 v14, v33, v14
	v_add_f16_e32 v12, v34, v12
	;; [unrolled: 1-line block ×3, first 2 shown]
	v_fma_f16 v16, v63, s17, -v77
	v_add_f16_e32 v125, v130, v125
	v_fma_f16 v130, v63, s15, v131
	v_add_f16_e32 v106, v107, v106
	v_fma_f16 v107, v63, s14, v117
	v_add_f16_e32 v92, v93, v92
	v_add_f16_e32 v13, v16, v13
	v_lshl_add_u32 v16, v32, 2, v30
	v_pack_b32_f16 v17, v81, v75
	v_pack_b32_f16 v12, v14, v12
	v_fma_f16 v146, v63, s21, -v145
	v_add_f16_e32 v125, v130, v125
	v_add_f16_e32 v106, v107, v106
	ds_write2_b32 v16, v12, v17 offset1:1
	v_pack_b32_f16 v12, v72, v78
	v_pack_b32_f16 v14, v92, v90
	v_add_f16_e32 v140, v146, v140
	ds_write2_b32 v16, v12, v14 offset0:2 offset1:3
	v_pack_b32_f16 v12, v125, v118
	v_pack_b32_f16 v14, v106, v104
	ds_write2_b32 v16, v14, v12 offset0:4 offset1:5
	v_pack_b32_f16 v12, v140, v133
	v_pack_b32_f16 v14, v134, v132
	;; [unrolled: 3-line block ×3, first 2 shown]
	s_mov_b32 s14, 0x5040100
	ds_write2_b32 v16, v14, v12 offset0:8 offset1:9
	v_pack_b32_f16 v12, v98, v91
	v_perm_b32 v14, v25, v11, s14
	ds_write2_b32 v16, v12, v14 offset0:10 offset1:11
	v_pack_b32_f16 v12, v13, v15
	ds_write_b32 v16, v12 offset:48
.LBB0_17:
	s_or_b64 exec, exec, s[4:5]
	s_waitcnt lgkmcnt(0)
	; wave barrier
	s_waitcnt lgkmcnt(0)
	ds_read2_b32 v[12:13], v31 offset1:26
	ds_read2_b32 v[14:15], v31 offset0:52 offset1:78
	ds_read2_b32 v[16:17], v31 offset0:104 offset1:130
	;; [unrolled: 1-line block ×4, first 2 shown]
	s_waitcnt lgkmcnt(4)
	v_lshrrev_b32_e32 v22, 16, v13
	v_mul_f16_sdwa v47, v0, v22 dst_sel:DWORD dst_unused:UNUSED_PAD src0_sel:WORD_1 src1_sel:DWORD
	s_waitcnt lgkmcnt(3)
	v_lshrrev_b32_e32 v23, 16, v14
	v_fma_f16 v47, v0, v13, v47
	v_mul_f16_sdwa v13, v0, v13 dst_sel:DWORD dst_unused:UNUSED_PAD src0_sel:WORD_1 src1_sel:DWORD
	v_fma_f16 v0, v0, v22, -v13
	v_mul_f16_sdwa v13, v1, v23 dst_sel:DWORD dst_unused:UNUSED_PAD src0_sel:WORD_1 src1_sel:DWORD
	v_lshrrev_b32_e32 v24, 16, v15
	v_fma_f16 v13, v1, v14, v13
	v_mul_f16_sdwa v14, v1, v14 dst_sel:DWORD dst_unused:UNUSED_PAD src0_sel:WORD_1 src1_sel:DWORD
	v_fma_f16 v1, v1, v23, -v14
	v_mul_f16_sdwa v14, v2, v24 dst_sel:DWORD dst_unused:UNUSED_PAD src0_sel:WORD_1 src1_sel:DWORD
	s_waitcnt lgkmcnt(2)
	v_lshrrev_b32_e32 v26, 16, v16
	v_fma_f16 v14, v2, v15, v14
	v_mul_f16_sdwa v15, v2, v15 dst_sel:DWORD dst_unused:UNUSED_PAD src0_sel:WORD_1 src1_sel:DWORD
	v_fma_f16 v2, v2, v24, -v15
	v_mul_f16_sdwa v15, v3, v26 dst_sel:DWORD dst_unused:UNUSED_PAD src0_sel:WORD_1 src1_sel:DWORD
	v_lshrrev_b32_e32 v30, 16, v17
	v_fma_f16 v15, v3, v16, v15
	v_mul_f16_sdwa v16, v3, v16 dst_sel:DWORD dst_unused:UNUSED_PAD src0_sel:WORD_1 src1_sel:DWORD
	v_fma_f16 v3, v3, v26, -v16
	v_mul_f16_sdwa v16, v4, v30 dst_sel:DWORD dst_unused:UNUSED_PAD src0_sel:WORD_1 src1_sel:DWORD
	s_waitcnt lgkmcnt(1)
	v_lshrrev_b32_e32 v33, 16, v18
	v_fma_f16 v16, v4, v17, v16
	v_mul_f16_sdwa v17, v4, v17 dst_sel:DWORD dst_unused:UNUSED_PAD src0_sel:WORD_1 src1_sel:DWORD
	v_fma_f16 v4, v4, v30, -v17
	v_mul_f16_sdwa v17, v5, v33 dst_sel:DWORD dst_unused:UNUSED_PAD src0_sel:WORD_1 src1_sel:DWORD
	v_lshrrev_b32_e32 v34, 16, v19
	v_fma_f16 v17, v5, v18, v17
	v_mul_f16_sdwa v18, v5, v18 dst_sel:DWORD dst_unused:UNUSED_PAD src0_sel:WORD_1 src1_sel:DWORD
	ds_read_b32 v32, v31 offset:1040
	v_fma_f16 v5, v5, v33, -v18
	v_mul_f16_sdwa v18, v6, v34 dst_sel:DWORD dst_unused:UNUSED_PAD src0_sel:WORD_1 src1_sel:DWORD
	s_waitcnt lgkmcnt(1)
	v_lshrrev_b32_e32 v44, 16, v20
	v_fma_f16 v18, v6, v19, v18
	v_mul_f16_sdwa v19, v6, v19 dst_sel:DWORD dst_unused:UNUSED_PAD src0_sel:WORD_1 src1_sel:DWORD
	v_fma_f16 v6, v6, v34, -v19
	v_mul_f16_sdwa v19, v7, v44 dst_sel:DWORD dst_unused:UNUSED_PAD src0_sel:WORD_1 src1_sel:DWORD
	v_lshrrev_b32_e32 v45, 16, v21
	v_fma_f16 v19, v7, v20, v19
	v_mul_f16_sdwa v20, v7, v20 dst_sel:DWORD dst_unused:UNUSED_PAD src0_sel:WORD_1 src1_sel:DWORD
	v_fma_f16 v7, v7, v44, -v20
	v_mul_f16_sdwa v20, v9, v45 dst_sel:DWORD dst_unused:UNUSED_PAD src0_sel:WORD_1 src1_sel:DWORD
	s_waitcnt lgkmcnt(0)
	v_lshrrev_b32_e32 v46, 16, v32
	v_fma_f16 v20, v9, v21, v20
	v_mul_f16_sdwa v21, v9, v21 dst_sel:DWORD dst_unused:UNUSED_PAD src0_sel:WORD_1 src1_sel:DWORD
	v_fma_f16 v9, v9, v45, -v21
	v_mul_f16_sdwa v21, v10, v46 dst_sel:DWORD dst_unused:UNUSED_PAD src0_sel:WORD_1 src1_sel:DWORD
	v_mul_f16_sdwa v22, v10, v32 dst_sel:DWORD dst_unused:UNUSED_PAD src0_sel:WORD_1 src1_sel:DWORD
	v_fma_f16 v21, v10, v32, v21
	v_fma_f16 v10, v10, v46, -v22
	v_add_f16_e32 v22, v12, v47
	v_add_f16_sdwa v23, v12, v0 dst_sel:DWORD dst_unused:UNUSED_PAD src0_sel:WORD_1 src1_sel:DWORD
	v_add_f16_e32 v22, v22, v13
	v_add_f16_e32 v23, v23, v1
	;; [unrolled: 1-line block ×17, first 2 shown]
	v_sub_f16_e32 v0, v0, v10
	v_add_f16_e32 v22, v22, v21
	v_add_f16_e32 v23, v23, v10
	;; [unrolled: 1-line block ×3, first 2 shown]
	v_sub_f16_e32 v21, v47, v21
	s_mov_b32 s17, 0xb853
	v_mul_f16_e32 v10, 0xb853, v0
	s_movk_i32 s18, 0x3abb
	v_mul_f16_e32 v32, 0x3abb, v26
	s_movk_i32 s19, 0x3853
	s_mov_b32 s5, 0xbb47
	v_mul_f16_e32 v34, 0xbb47, v0
	s_movk_i32 s14, 0x36a6
	v_mul_f16_e32 v45, 0x36a6, v26
	s_movk_i32 s15, 0x3b47
	s_mov_b32 s4, 0xbbeb
	v_mul_f16_e32 v47, 0xbbeb, v0
	s_mov_b32 s16, 0xb08e
	v_mul_f16_e32 v49, 0xb08e, v26
	s_movk_i32 s20, 0x3beb
	s_mov_b32 s21, 0xba0c
	v_mul_f16_e32 v51, 0xba0c, v0
	s_mov_b32 s22, 0xb93d
	v_mul_f16_e32 v53, 0xb93d, v26
	s_movk_i32 s23, 0x3a0c
	s_mov_b32 s24, 0xb482
	v_mul_f16_e32 v0, 0xb482, v0
	s_mov_b32 s25, 0xbbad
	v_mul_f16_e32 v26, 0xbbad, v26
	s_movk_i32 s26, 0x3482
	v_fma_f16 v30, v24, s18, v10
	v_fma_f16 v33, v21, s19, v32
	v_fma_f16 v10, v24, s18, -v10
	v_fma_f16 v32, v21, s17, v32
	v_fma_f16 v44, v24, s14, v34
	v_fma_f16 v46, v21, s15, v45
	v_fma_f16 v34, v24, s14, -v34
	v_fma_f16 v45, v21, s5, v45
	;; [unrolled: 4-line block ×5, first 2 shown]
	v_add_f16_e32 v24, v1, v9
	v_sub_f16_e32 v1, v1, v9
	v_add_f16_e32 v30, v12, v30
	v_add_f16_sdwa v33, v12, v33 dst_sel:DWORD dst_unused:UNUSED_PAD src0_sel:WORD_1 src1_sel:DWORD
	v_add_f16_e32 v10, v12, v10
	v_add_f16_sdwa v32, v12, v32 dst_sel:DWORD dst_unused:UNUSED_PAD src0_sel:WORD_1 src1_sel:DWORD
	v_add_f16_e32 v44, v12, v44
	v_add_f16_sdwa v46, v12, v46 dst_sel:DWORD dst_unused:UNUSED_PAD src0_sel:WORD_1 src1_sel:DWORD
	v_add_f16_e32 v34, v12, v34
	v_add_f16_sdwa v45, v12, v45 dst_sel:DWORD dst_unused:UNUSED_PAD src0_sel:WORD_1 src1_sel:DWORD
	v_add_f16_e32 v48, v12, v48
	v_add_f16_sdwa v50, v12, v50 dst_sel:DWORD dst_unused:UNUSED_PAD src0_sel:WORD_1 src1_sel:DWORD
	v_add_f16_e32 v47, v12, v47
	v_add_f16_sdwa v49, v12, v49 dst_sel:DWORD dst_unused:UNUSED_PAD src0_sel:WORD_1 src1_sel:DWORD
	v_add_f16_e32 v52, v12, v52
	v_add_f16_sdwa v54, v12, v54 dst_sel:DWORD dst_unused:UNUSED_PAD src0_sel:WORD_1 src1_sel:DWORD
	v_add_f16_e32 v51, v12, v51
	v_add_f16_sdwa v53, v12, v53 dst_sel:DWORD dst_unused:UNUSED_PAD src0_sel:WORD_1 src1_sel:DWORD
	v_add_f16_e32 v55, v12, v55
	v_add_f16_sdwa v56, v12, v56 dst_sel:DWORD dst_unused:UNUSED_PAD src0_sel:WORD_1 src1_sel:DWORD
	v_add_f16_e32 v0, v12, v0
	v_add_f16_sdwa v12, v12, v21 dst_sel:DWORD dst_unused:UNUSED_PAD src0_sel:WORD_1 src1_sel:DWORD
	v_add_f16_e32 v21, v13, v20
	v_mul_f16_e32 v9, 0xbb47, v1
	v_sub_f16_e32 v13, v13, v20
	v_fma_f16 v20, v21, s14, v9
	v_mul_f16_e32 v26, 0x36a6, v24
	v_fma_f16 v9, v21, s14, -v9
	v_add_f16_e32 v20, v20, v30
	v_fma_f16 v30, v13, s15, v26
	v_add_f16_e32 v9, v9, v10
	v_fma_f16 v10, v13, s5, v26
	v_mul_f16_e32 v26, 0xba0c, v1
	v_add_f16_e32 v30, v30, v33
	v_add_f16_e32 v10, v10, v32
	v_fma_f16 v32, v21, s22, v26
	v_mul_f16_e32 v33, 0xb93d, v24
	v_fma_f16 v26, v21, s22, -v26
	v_add_f16_e32 v32, v32, v44
	v_fma_f16 v44, v13, s23, v33
	v_add_f16_e32 v26, v26, v34
	v_fma_f16 v33, v13, s21, v33
	v_mul_f16_e32 v34, 0x3482, v1
	v_add_f16_e32 v44, v44, v46
	v_add_f16_e32 v33, v33, v45
	;; [unrolled: 10-line block ×3, first 2 shown]
	v_fma_f16 v49, v21, s16, v47
	v_mul_f16_e32 v50, 0xb08e, v24
	v_fma_f16 v47, v21, s16, -v47
	v_mul_f16_e32 v1, 0x3853, v1
	v_add_f16_e32 v49, v49, v52
	v_fma_f16 v52, v13, s4, v50
	v_add_f16_e32 v47, v47, v51
	v_fma_f16 v50, v13, s20, v50
	v_fma_f16 v51, v21, s18, v1
	v_mul_f16_e32 v24, 0x3abb, v24
	v_fma_f16 v1, v21, s18, -v1
	v_add_f16_e32 v50, v50, v53
	v_fma_f16 v53, v13, s17, v24
	v_add_f16_e32 v0, v1, v0
	v_fma_f16 v1, v13, s19, v24
	v_add_f16_e32 v13, v2, v7
	v_sub_f16_e32 v2, v2, v7
	v_add_f16_e32 v1, v1, v12
	v_add_f16_e32 v12, v14, v19
	v_mul_f16_e32 v7, 0xbbeb, v2
	v_sub_f16_e32 v14, v14, v19
	v_fma_f16 v19, v12, s16, v7
	v_add_f16_e32 v19, v19, v20
	v_mul_f16_e32 v20, 0xb08e, v13
	v_fma_f16 v7, v12, s16, -v7
	v_add_f16_e32 v7, v7, v9
	v_fma_f16 v9, v14, s4, v20
	v_add_f16_e32 v9, v9, v10
	v_mul_f16_e32 v10, 0x3482, v2
	v_fma_f16 v21, v14, s20, v20
	v_fma_f16 v20, v12, s25, v10
	v_fma_f16 v10, v12, s25, -v10
	v_mul_f16_e32 v24, 0xbbad, v13
	v_add_f16_e32 v10, v10, v26
	v_mul_f16_e32 v26, 0x3b47, v2
	v_add_f16_e32 v21, v21, v30
	v_add_f16_e32 v20, v20, v32
	v_fma_f16 v30, v14, s24, v24
	v_fma_f16 v24, v14, s26, v24
	;; [unrolled: 1-line block ×3, first 2 shown]
	v_fma_f16 v26, v12, s14, -v26
	v_add_f16_e32 v24, v24, v33
	v_mul_f16_e32 v33, 0x36a6, v13
	v_add_f16_e32 v26, v26, v34
	v_mul_f16_e32 v34, 0xb853, v2
	v_add_f16_e32 v30, v30, v44
	v_add_f16_e32 v32, v32, v45
	v_fma_f16 v44, v14, s5, v33
	v_fma_f16 v33, v14, s15, v33
	v_fma_f16 v45, v12, s18, v34
	v_fma_f16 v34, v12, s18, -v34
	v_mul_f16_e32 v2, 0xba0c, v2
	v_add_f16_e32 v33, v33, v46
	v_mul_f16_e32 v46, 0x3abb, v13
	v_add_f16_e32 v34, v34, v47
	v_fma_f16 v47, v12, s22, v2
	v_mul_f16_e32 v13, 0xb93d, v13
	v_fma_f16 v2, v12, s22, -v2
	v_add_f16_e32 v0, v2, v0
	v_fma_f16 v2, v14, s21, v13
	v_add_f16_e32 v12, v3, v6
	v_sub_f16_e32 v3, v3, v6
	v_add_f16_e32 v1, v2, v1
	v_add_f16_e32 v2, v15, v18
	v_mul_f16_e32 v6, 0xba0c, v3
	v_add_f16_e32 v44, v44, v48
	v_add_f16_e32 v45, v45, v49
	v_fma_f16 v48, v14, s19, v46
	v_fma_f16 v46, v14, s17, v46
	;; [unrolled: 1-line block ×3, first 2 shown]
	v_sub_f16_e32 v13, v15, v18
	v_fma_f16 v14, v2, s22, v6
	v_mul_f16_e32 v15, 0xb93d, v12
	v_fma_f16 v6, v2, s22, -v6
	v_add_f16_e32 v6, v6, v7
	v_fma_f16 v7, v13, s21, v15
	v_add_f16_e32 v7, v7, v9
	v_mul_f16_e32 v9, 0x3beb, v3
	v_add_f16_e32 v14, v14, v19
	v_fma_f16 v18, v13, s23, v15
	v_fma_f16 v15, v2, s16, v9
	v_mul_f16_e32 v19, 0xb08e, v12
	v_fma_f16 v9, v2, s16, -v9
	v_add_f16_e32 v18, v18, v21
	v_add_f16_e32 v21, v9, v10
	v_fma_f16 v9, v13, s20, v19
	v_add_f16_e32 v15, v15, v20
	v_fma_f16 v20, v13, s4, v19
	v_add_f16_e32 v19, v9, v24
	v_mul_f16_e32 v9, 0xb853, v3
	v_fma_f16 v10, v2, s18, v9
	v_add_f16_e32 v24, v10, v32
	v_mul_f16_e32 v10, 0x3abb, v12
	v_fma_f16 v9, v2, s18, -v9
	v_add_f16_e32 v26, v9, v26
	v_fma_f16 v9, v13, s17, v10
	v_add_f16_e32 v32, v9, v33
	v_mul_f16_e32 v9, 0xb482, v3
	v_add_f16_e32 v20, v20, v30
	v_fma_f16 v30, v13, s19, v10
	v_fma_f16 v10, v2, s25, v9
	v_add_f16_e32 v33, v10, v45
	v_mul_f16_e32 v10, 0xbbad, v12
	v_fma_f16 v9, v2, s25, -v9
	v_add_f16_e32 v51, v51, v55
	v_add_f16_e32 v46, v46, v50
	;; [unrolled: 1-line block ×3, first 2 shown]
	v_fma_f16 v9, v13, s24, v10
	v_mul_f16_e32 v3, 0x3b47, v3
	v_add_f16_e32 v47, v47, v51
	v_add_f16_e32 v45, v9, v46
	v_fma_f16 v9, v2, s14, v3
	v_add_f16_e32 v46, v9, v47
	v_mul_f16_e32 v9, 0x36a6, v12
	v_fma_f16 v2, v2, s14, -v3
	v_add_f16_e32 v0, v2, v0
	v_fma_f16 v2, v13, s15, v9
	v_add_f16_e32 v3, v4, v5
	v_sub_f16_e32 v4, v4, v5
	v_add_f16_e32 v1, v2, v1
	v_add_f16_e32 v2, v16, v17
	v_mul_f16_e32 v5, 0xb482, v4
	v_add_f16_e32 v53, v53, v56
	v_add_f16_e32 v30, v30, v44
	v_fma_f16 v44, v13, s26, v10
	v_fma_f16 v10, v13, s5, v9
	;; [unrolled: 1-line block ×3, first 2 shown]
	v_add_f16_e32 v49, v49, v53
	v_sub_f16_e32 v13, v16, v17
	v_add_f16_e32 v14, v9, v14
	v_mul_f16_e32 v9, 0xbbad, v3
	v_add_f16_e32 v12, v10, v49
	v_fma_f16 v10, v13, s26, v9
	v_fma_f16 v5, v2, s25, -v5
	v_add_f16_e32 v16, v10, v18
	v_add_f16_e32 v10, v5, v6
	v_fma_f16 v5, v13, s24, v9
	v_add_f16_e32 v9, v5, v7
	v_mul_f16_e32 v5, 0x3853, v4
	v_fma_f16 v6, v2, s18, v5
	v_mul_f16_e32 v7, 0x3abb, v3
	v_add_f16_e32 v6, v6, v15
	v_fma_f16 v15, v13, s17, v7
	v_fma_f16 v7, v13, s19, v7
	v_fma_f16 v5, v2, s18, -v5
	v_add_f16_e32 v7, v7, v19
	v_mul_f16_e32 v17, 0xba0c, v4
	v_mul_f16_e32 v19, 0xb93d, v3
	v_add_f16_e32 v15, v15, v20
	v_add_f16_e32 v5, v5, v21
	v_fma_f16 v18, v2, s22, v17
	v_fma_f16 v20, v13, s23, v19
	v_fma_f16 v17, v2, s22, -v17
	v_fma_f16 v19, v13, s21, v19
	v_mul_f16_e32 v21, 0x3b47, v4
	v_mul_f16_e32 v4, 0xbbeb, v4
	v_add_f16_e32 v18, v18, v24
	v_add_f16_e32 v17, v17, v26
	;; [unrolled: 1-line block ×3, first 2 shown]
	v_fma_f16 v24, v2, s14, v21
	v_mul_f16_e32 v26, 0x36a6, v3
	v_fma_f16 v21, v2, s14, -v21
	v_fma_f16 v32, v2, s16, v4
	v_mul_f16_e32 v3, 0xb08e, v3
	v_fma_f16 v2, v2, s16, -v4
	v_add_f16_e32 v52, v52, v54
	v_add_f16_e32 v20, v20, v30
	v_fma_f16 v30, v13, s5, v26
	v_fma_f16 v26, v13, s15, v26
	v_add_f16_e32 v0, v2, v0
	v_fma_f16 v2, v13, s4, v3
	v_add_f16_e32 v48, v48, v52
	v_add_f16_e32 v21, v21, v34
	v_add_f16_e32 v26, v26, v45
	v_add_f16_e32 v1, v2, v1
	v_add_f16_e32 v44, v44, v48
	v_add_f16_e32 v24, v24, v33
	v_fma_f16 v33, v13, s20, v3
	v_pack_b32_f16 v2, v22, v23
	v_pack_b32_f16 v3, v14, v16
	;; [unrolled: 1-line block ×4, first 2 shown]
	v_add_f16_e32 v30, v30, v44
	v_add_f16_e32 v32, v32, v46
	;; [unrolled: 1-line block ×3, first 2 shown]
	s_waitcnt lgkmcnt(0)
	; wave barrier
	ds_write2_b32 v37, v2, v3 offset1:13
	v_pack_b32_f16 v2, v6, v15
	v_pack_b32_f16 v3, v18, v20
	ds_write2_b32 v37, v0, v1 offset0:78 offset1:91
	v_pack_b32_f16 v0, v17, v19
	v_pack_b32_f16 v1, v5, v7
	ds_write2_b32 v37, v2, v3 offset0:26 offset1:39
	;; [unrolled: 3-line block ×3, first 2 shown]
	v_pack_b32_f16 v0, v10, v9
	ds_write2_b32 v37, v2, v3 offset0:52 offset1:65
	ds_write_b32 v37, v0 offset:520
	s_waitcnt lgkmcnt(0)
	; wave barrier
	s_waitcnt lgkmcnt(0)
	ds_read2_b32 v[4:5], v31 offset1:26
	ds_read2_b32 v[0:1], v31 offset0:104 offset1:143
	ds_read2_b32 v[12:13], v31 offset0:169 offset1:195
	;; [unrolled: 1-line block ×4, first 2 shown]
	v_add_u32_e32 v14, 0x1a0, v43
	s_and_saveexec_b64 s[4:5], s[2:3]
	s_cbranch_execz .LBB0_19
; %bb.18:
	v_add_u32_e32 v9, 0x200, v31
	ds_read2_b32 v[10:11], v9 offset0:2 offset1:145
	s_waitcnt lgkmcnt(0)
	v_lshrrev_b32_e32 v9, 16, v10
	v_lshrrev_b32_e32 v25, 16, v11
.LBB0_19:
	s_or_b64 exec, exec, s[4:5]
	s_waitcnt lgkmcnt(3)
	v_lshrrev_b32_e32 v16, 16, v1
	v_mul_f16_sdwa v26, v38, v16 dst_sel:DWORD dst_unused:UNUSED_PAD src0_sel:WORD_1 src1_sel:DWORD
	s_waitcnt lgkmcnt(2)
	v_lshrrev_b32_e32 v18, 16, v12
	v_fma_f16 v26, v38, v1, v26
	v_mul_f16_sdwa v1, v38, v1 dst_sel:DWORD dst_unused:UNUSED_PAD src0_sel:WORD_1 src1_sel:DWORD
	v_fma_f16 v1, v38, v16, -v1
	v_mul_f16_sdwa v16, v39, v18 dst_sel:DWORD dst_unused:UNUSED_PAD src0_sel:WORD_1 src1_sel:DWORD
	v_lshrrev_b32_e32 v20, 16, v13
	v_fma_f16 v16, v39, v12, v16
	v_mul_f16_sdwa v12, v39, v12 dst_sel:DWORD dst_unused:UNUSED_PAD src0_sel:WORD_1 src1_sel:DWORD
	v_fma_f16 v12, v39, v18, -v12
	v_mul_f16_sdwa v18, v40, v20 dst_sel:DWORD dst_unused:UNUSED_PAD src0_sel:WORD_1 src1_sel:DWORD
	s_waitcnt lgkmcnt(0)
	v_lshrrev_b32_e32 v22, 16, v6
	v_fma_f16 v18, v40, v13, v18
	v_mul_f16_sdwa v13, v40, v13 dst_sel:DWORD dst_unused:UNUSED_PAD src0_sel:WORD_1 src1_sel:DWORD
	v_fma_f16 v13, v40, v20, -v13
	v_mul_f16_sdwa v20, v41, v22 dst_sel:DWORD dst_unused:UNUSED_PAD src0_sel:WORD_1 src1_sel:DWORD
	v_lshrrev_b32_e32 v24, 16, v7
	v_fma_f16 v20, v41, v6, v20
	v_mul_f16_sdwa v6, v41, v6 dst_sel:DWORD dst_unused:UNUSED_PAD src0_sel:WORD_1 src1_sel:DWORD
	v_fma_f16 v6, v41, v22, -v6
	v_mul_f16_sdwa v22, v42, v24 dst_sel:DWORD dst_unused:UNUSED_PAD src0_sel:WORD_1 src1_sel:DWORD
	v_fma_f16 v22, v42, v7, v22
	v_mul_f16_sdwa v7, v42, v7 dst_sel:DWORD dst_unused:UNUSED_PAD src0_sel:WORD_1 src1_sel:DWORD
	v_lshrrev_b32_e32 v15, 16, v4
	v_lshrrev_b32_e32 v17, 16, v5
	;; [unrolled: 1-line block ×5, first 2 shown]
	v_fma_f16 v7, v42, v24, -v7
	v_sub_f16_e32 v24, v4, v26
	v_sub_f16_e32 v1, v15, v1
	;; [unrolled: 1-line block ×10, first 2 shown]
	v_fma_f16 v4, v4, 2.0, -v24
	v_fma_f16 v15, v15, 2.0, -v1
	;; [unrolled: 1-line block ×10, first 2 shown]
	v_pack_b32_f16 v4, v4, v15
	v_pack_b32_f16 v1, v24, v1
	;; [unrolled: 1-line block ×6, first 2 shown]
	ds_write2_b32 v35, v4, v5 offset1:26
	v_pack_b32_f16 v4, v16, v12
	v_pack_b32_f16 v5, v18, v13
	ds_write2_b32 v35, v2, v3 offset0:52 offset1:78
	v_pack_b32_f16 v2, v20, v6
	ds_write2_b32 v35, v0, v1 offset0:104 offset1:143
	v_pack_b32_f16 v0, v22, v7
	ds_write2_b32 v35, v4, v5 offset0:169 offset1:195
	ds_write_b32 v35, v2 offset:884
	ds_write_b32 v14, v0 offset:572
	s_and_saveexec_b64 s[4:5], s[2:3]
	s_cbranch_execz .LBB0_21
; %bb.20:
	v_mul_f16_sdwa v0, v36, v25 dst_sel:DWORD dst_unused:UNUSED_PAD src0_sel:WORD_1 src1_sel:DWORD
	v_mul_f16_sdwa v2, v36, v11 dst_sel:DWORD dst_unused:UNUSED_PAD src0_sel:WORD_1 src1_sel:DWORD
	v_fma_f16 v0, v36, v11, v0
	v_fma_f16 v2, v36, v25, -v2
	v_sub_f16_e32 v0, v10, v0
	v_sub_f16_e32 v2, v9, v2
	v_fma_f16 v1, v10, 2.0, -v0
	v_fma_f16 v3, v9, 2.0, -v2
	v_pack_b32_f16 v1, v1, v3
	v_pack_b32_f16 v0, v0, v2
	v_add_u32_e32 v2, 0x200, v35
	ds_write2_b32 v2, v1, v0 offset0:2 offset1:145
.LBB0_21:
	s_or_b64 exec, exec, s[4:5]
	s_waitcnt lgkmcnt(0)
	; wave barrier
	s_waitcnt lgkmcnt(0)
	s_and_b64 exec, exec, s[0:1]
	s_cbranch_execz .LBB0_23
; %bb.22:
	global_load_dword v9, v27, s[6:7]
	global_load_dword v7, v27, s[6:7] offset:88
	ds_read_b32 v15, v35
	v_mad_u64_u32 v[0:1], s[0:1], s10, v8, 0
	v_mad_u64_u32 v[2:3], s[0:1], s8, v28, 0
	v_mov_b32_e32 v4, 0x7c00
	s_mov_b32 s14, 0x55ee191
	v_mad_u64_u32 v[18:19], s[0:1], s11, v8, v[1:2]
	s_waitcnt lgkmcnt(0)
	v_lshrrev_b32_e32 v1, 16, v15
	v_mad_u64_u32 v[19:20], s[0:1], s9, v28, v[3:4]
	s_mov_b32 s15, 0x3f6ca4b3
	s_movk_i32 s18, 0x1ff
	v_mov_b32_e32 v3, v19
	s_movk_i32 s17, 0xffe
	global_load_dword v10, v27, s[6:7] offset:176
	global_load_dword v11, v27, s[6:7] offset:264
	;; [unrolled: 1-line block ×6, first 2 shown]
	v_lshl_add_u32 v5, v29, 2, v27
	ds_read2_b32 v[16:17], v5 offset0:22 offset1:44
	s_movk_i32 s16, 0x40f
	s_mov_b32 s10, 0x8000
	s_waitcnt vmcnt(7)
	v_mul_f16_sdwa v8, v1, v9 dst_sel:DWORD dst_unused:UNUSED_PAD src0_sel:DWORD src1_sel:WORD_1
	v_fma_f16 v8, v15, v9, v8
	v_mul_f16_sdwa v15, v15, v9 dst_sel:DWORD dst_unused:UNUSED_PAD src0_sel:DWORD src1_sel:WORD_1
	v_cvt_f32_f16_e32 v8, v8
	v_fma_f16 v1, v9, v1, -v15
	v_cvt_f32_f16_e32 v1, v1
	s_waitcnt lgkmcnt(0)
	v_lshrrev_b32_e32 v15, 16, v16
	v_cvt_f64_f32_e32 v[8:9], v8
	v_cvt_f64_f32_e32 v[20:21], v1
	v_mov_b32_e32 v1, v18
	v_mul_f64 v[8:9], v[8:9], s[14:15]
	v_lshlrev_b64 v[0:1], 2, v[0:1]
	v_mul_f64 v[18:19], v[20:21], s[14:15]
	s_waitcnt vmcnt(6)
	v_mul_f16_sdwa v20, v15, v7 dst_sel:DWORD dst_unused:UNUSED_PAD src0_sel:DWORD src1_sel:WORD_1
	v_fma_f16 v20, v16, v7, v20
	v_cvt_f32_f16_e32 v20, v20
	v_mul_f16_sdwa v16, v16, v7 dst_sel:DWORD dst_unused:UNUSED_PAD src0_sel:DWORD src1_sel:WORD_1
	v_fma_f16 v7, v7, v15, -v16
	v_and_or_b32 v8, v9, s18, v8
	v_cmp_ne_u32_e32 vcc, 0, v8
	v_and_or_b32 v18, v19, s18, v18
	v_lshrrev_b32_e32 v21, 8, v9
	v_bfe_u32 v22, v9, 20, 11
	v_cndmask_b32_e64 v8, 0, 1, vcc
	v_cmp_ne_u32_e32 vcc, 0, v18
	v_lshrrev_b32_e32 v23, 8, v19
	v_bfe_u32 v24, v19, 20, 11
	v_sub_u32_e32 v25, 0x3f1, v22
	v_cndmask_b32_e64 v18, 0, 1, vcc
	v_and_or_b32 v8, v21, s17, v8
	v_sub_u32_e32 v26, 0x3f1, v24
	v_med3_i32 v21, v25, 0, 13
	v_and_or_b32 v18, v23, s17, v18
	v_or_b32_e32 v25, 0x1000, v8
	v_add_u32_e32 v22, 0xfffffc10, v22
	v_med3_i32 v23, v26, 0, 13
	v_cmp_ne_u32_e32 vcc, 0, v8
	v_or_b32_e32 v28, 0x1000, v18
	v_lshrrev_b32_e32 v30, v21, v25
	v_add_u32_e32 v24, 0xfffffc10, v24
	v_lshl_or_b32 v26, v22, 12, v8
	v_cndmask_b32_e64 v8, 0, 1, vcc
	v_cmp_ne_u32_e32 vcc, 0, v18
	v_lshrrev_b32_e32 v31, v23, v28
	v_lshlrev_b32_e32 v21, v21, v30
	v_lshl_or_b32 v29, v24, 12, v18
	v_cndmask_b32_e64 v18, 0, 1, vcc
	v_lshlrev_b32_e32 v23, v23, v31
	v_cmp_ne_u32_e32 vcc, v21, v25
	v_cndmask_b32_e64 v21, 0, 1, vcc
	v_cmp_ne_u32_e32 vcc, v23, v28
	v_cndmask_b32_e64 v23, 0, 1, vcc
	v_or_b32_e32 v21, v30, v21
	v_cmp_gt_i32_e32 vcc, 1, v22
	v_cndmask_b32_e32 v21, v26, v21, vcc
	v_or_b32_e32 v23, v31, v23
	v_cmp_gt_i32_e32 vcc, 1, v24
	v_and_b32_e32 v25, 7, v21
	v_cndmask_b32_e32 v23, v29, v23, vcc
	v_cmp_lt_i32_e32 vcc, 5, v25
	v_cmp_eq_u32_e64 s[0:1], 3, v25
	v_lshrrev_b32_e32 v21, 2, v21
	v_and_b32_e32 v26, 7, v23
	s_or_b64 vcc, s[0:1], vcc
	v_cmp_lt_i32_e64 s[2:3], 5, v26
	v_cmp_eq_u32_e64 s[4:5], 3, v26
	v_addc_co_u32_e32 v21, vcc, 0, v21, vcc
	v_lshrrev_b32_e32 v23, 2, v23
	s_or_b64 vcc, s[4:5], s[2:3]
	v_addc_co_u32_e32 v23, vcc, 0, v23, vcc
	v_cmp_gt_i32_e32 vcc, 31, v22
	v_cndmask_b32_e32 v21, v4, v21, vcc
	v_cmp_gt_i32_e32 vcc, 31, v24
	v_lshl_or_b32 v8, v8, 9, v4
	v_cndmask_b32_e32 v23, v4, v23, vcc
	v_cmp_eq_u32_e32 vcc, s16, v22
	v_lshrrev_b32_e32 v9, 16, v9
	v_lshl_or_b32 v18, v18, 9, v4
	v_cndmask_b32_e32 v8, v21, v8, vcc
	v_cmp_eq_u32_e32 vcc, s16, v24
	v_lshrrev_b32_e32 v19, 16, v19
	v_cndmask_b32_e32 v18, v23, v18, vcc
	v_and_or_b32 v8, v9, s10, v8
	v_and_or_b32 v18, v19, s10, v18
	v_and_b32_e32 v19, 0xffff, v8
	v_cvt_f64_f32_e32 v[8:9], v20
	v_lshl_or_b32 v18, v18, 16, v19
	v_mov_b32_e32 v19, s13
	v_add_co_u32_e32 v20, vcc, s12, v0
	v_mul_f64 v[8:9], v[8:9], s[14:15]
	v_addc_co_u32_e32 v19, vcc, v19, v1, vcc
	v_lshlrev_b64 v[0:1], 2, v[2:3]
	v_cvt_f32_f16_e32 v7, v7
	v_add_co_u32_e32 v0, vcc, v20, v0
	v_addc_co_u32_e32 v1, vcc, v19, v1, vcc
	v_and_or_b32 v2, v9, s18, v8
	v_cmp_ne_u32_e32 vcc, 0, v2
	v_cndmask_b32_e64 v2, 0, 1, vcc
	v_lshrrev_b32_e32 v3, 8, v9
	v_and_or_b32 v8, v3, s17, v2
	v_bfe_u32 v3, v9, 20, 11
	global_store_dword v[0:1], v18, off
	v_sub_u32_e32 v18, 0x3f1, v3
	v_or_b32_e32 v2, 0x1000, v8
	v_med3_i32 v18, v18, 0, 13
	v_lshrrev_b32_e32 v19, v18, v2
	v_lshlrev_b32_e32 v18, v18, v19
	v_cmp_ne_u32_e32 vcc, v18, v2
	v_cndmask_b32_e64 v2, 0, 1, vcc
	v_add_u32_e32 v18, 0xfffffc10, v3
	v_or_b32_e32 v2, v19, v2
	v_lshl_or_b32 v3, v18, 12, v8
	v_cmp_gt_i32_e32 vcc, 1, v18
	v_cndmask_b32_e32 v2, v3, v2, vcc
	v_and_b32_e32 v3, 7, v2
	v_cmp_lt_i32_e32 vcc, 5, v3
	v_cmp_eq_u32_e64 s[0:1], 3, v3
	v_lshrrev_b32_e32 v15, 2, v2
	v_cvt_f64_f32_e32 v[2:3], v7
	s_or_b64 vcc, s[0:1], vcc
	v_addc_co_u32_e32 v7, vcc, 0, v15, vcc
	v_mul_f64 v[2:3], v[2:3], s[14:15]
	v_cmp_gt_i32_e32 vcc, 31, v18
	v_cndmask_b32_e32 v7, v4, v7, vcc
	v_cmp_ne_u32_e32 vcc, 0, v8
	v_cndmask_b32_e64 v8, 0, 1, vcc
	v_lshl_or_b32 v8, v8, 9, v4
	v_cmp_eq_u32_e32 vcc, s16, v18
	v_cndmask_b32_e32 v7, v7, v8, vcc
	v_and_or_b32 v2, v3, s18, v2
	v_lshrrev_b32_e32 v8, 16, v9
	v_cmp_ne_u32_e32 vcc, 0, v2
	v_and_or_b32 v7, v8, s10, v7
	v_cndmask_b32_e64 v2, 0, 1, vcc
	v_lshrrev_b32_e32 v8, 8, v3
	v_bfe_u32 v9, v3, 20, 11
	v_and_or_b32 v2, v8, s17, v2
	v_sub_u32_e32 v15, 0x3f1, v9
	v_or_b32_e32 v8, 0x1000, v2
	v_med3_i32 v15, v15, 0, 13
	v_lshrrev_b32_e32 v16, v15, v8
	v_lshlrev_b32_e32 v15, v15, v16
	v_cmp_ne_u32_e32 vcc, v15, v8
	v_cndmask_b32_e64 v8, 0, 1, vcc
	v_add_u32_e32 v9, 0xfffffc10, v9
	v_or_b32_e32 v8, v16, v8
	v_lshl_or_b32 v15, v9, 12, v2
	v_cmp_gt_i32_e32 vcc, 1, v9
	v_cndmask_b32_e32 v8, v15, v8, vcc
	v_and_b32_e32 v15, 7, v8
	v_cmp_lt_i32_e32 vcc, 5, v15
	v_cmp_eq_u32_e64 s[0:1], 3, v15
	v_lshrrev_b32_e32 v8, 2, v8
	s_or_b64 vcc, s[0:1], vcc
	v_addc_co_u32_e32 v8, vcc, 0, v8, vcc
	v_cmp_gt_i32_e32 vcc, 31, v9
	v_cndmask_b32_e32 v8, v4, v8, vcc
	v_cmp_ne_u32_e32 vcc, 0, v2
	v_cndmask_b32_e64 v2, 0, 1, vcc
	v_lshl_or_b32 v2, v2, 9, v4
	v_cmp_eq_u32_e32 vcc, s16, v9
	v_cndmask_b32_e32 v2, v8, v2, vcc
	v_lshrrev_b32_e32 v8, 16, v17
	s_waitcnt vmcnt(6)
	v_mul_f16_sdwa v9, v8, v10 dst_sel:DWORD dst_unused:UNUSED_PAD src0_sel:DWORD src1_sel:WORD_1
	v_fma_f16 v9, v17, v10, v9
	v_cvt_f32_f16_e32 v9, v9
	v_lshrrev_b32_e32 v3, 16, v3
	v_and_or_b32 v2, v3, s10, v2
	v_and_b32_e32 v3, 0xffff, v7
	v_lshl_or_b32 v7, v2, 16, v3
	v_cvt_f64_f32_e32 v[2:3], v9
	s_mul_i32 s0, s9, 0x58
	s_mul_hi_u32 s2, s8, 0x58
	s_add_i32 s2, s2, s0
	v_mul_f64 v[2:3], v[2:3], s[14:15]
	s_mul_i32 s3, s8, 0x58
	v_mov_b32_e32 v9, s2
	v_add_co_u32_e32 v0, vcc, s3, v0
	v_addc_co_u32_e32 v1, vcc, v1, v9, vcc
	global_store_dword v[0:1], v7, off
	v_and_or_b32 v2, v3, s18, v2
	v_cmp_ne_u32_e32 vcc, 0, v2
	v_cndmask_b32_e64 v2, 0, 1, vcc
	v_lshrrev_b32_e32 v7, 8, v3
	v_bfe_u32 v9, v3, 20, 11
	v_and_or_b32 v2, v7, s17, v2
	v_sub_u32_e32 v15, 0x3f1, v9
	v_or_b32_e32 v7, 0x1000, v2
	v_med3_i32 v15, v15, 0, 13
	v_lshrrev_b32_e32 v16, v15, v7
	v_lshlrev_b32_e32 v15, v15, v16
	v_cmp_ne_u32_e32 vcc, v15, v7
	v_cndmask_b32_e64 v7, 0, 1, vcc
	v_or_b32_e32 v7, v16, v7
	v_mul_f16_sdwa v16, v17, v10 dst_sel:DWORD dst_unused:UNUSED_PAD src0_sel:DWORD src1_sel:WORD_1
	v_fma_f16 v8, v10, v8, -v16
	v_cvt_f32_f16_e32 v8, v8
	v_add_u32_e32 v9, 0xfffffc10, v9
	v_lshl_or_b32 v15, v9, 12, v2
	v_cmp_gt_i32_e32 vcc, 1, v9
	v_cndmask_b32_e32 v7, v15, v7, vcc
	v_and_b32_e32 v15, 7, v7
	v_lshrrev_b32_e32 v10, 2, v7
	v_cvt_f64_f32_e32 v[7:8], v8
	v_cmp_lt_i32_e32 vcc, 5, v15
	v_cmp_eq_u32_e64 s[0:1], 3, v15
	s_or_b64 vcc, s[0:1], vcc
	v_mul_f64 v[7:8], v[7:8], s[14:15]
	v_addc_co_u32_e32 v10, vcc, 0, v10, vcc
	v_cmp_gt_i32_e32 vcc, 31, v9
	v_cndmask_b32_e32 v10, v4, v10, vcc
	v_cmp_ne_u32_e32 vcc, 0, v2
	v_cndmask_b32_e64 v2, 0, 1, vcc
	v_lshl_or_b32 v2, v2, 9, v4
	v_cmp_eq_u32_e32 vcc, s16, v9
	v_cndmask_b32_e32 v2, v10, v2, vcc
	v_lshrrev_b32_e32 v3, 16, v3
	v_and_or_b32 v15, v3, s10, v2
	v_and_or_b32 v2, v8, s18, v7
	v_cmp_ne_u32_e32 vcc, 0, v2
	v_cndmask_b32_e64 v2, 0, 1, vcc
	v_lshrrev_b32_e32 v3, 8, v8
	v_and_or_b32 v7, v3, s17, v2
	v_bfe_u32 v3, v8, 20, 11
	v_sub_u32_e32 v9, 0x3f1, v3
	v_or_b32_e32 v2, 0x1000, v7
	v_med3_i32 v9, v9, 0, 13
	v_lshrrev_b32_e32 v10, v9, v2
	v_lshlrev_b32_e32 v9, v9, v10
	v_cmp_ne_u32_e32 vcc, v9, v2
	v_cndmask_b32_e64 v2, 0, 1, vcc
	v_add_u32_e32 v9, 0xfffffc10, v3
	v_or_b32_e32 v2, v10, v2
	v_lshl_or_b32 v3, v9, 12, v7
	v_cmp_gt_i32_e32 vcc, 1, v9
	v_cndmask_b32_e32 v2, v3, v2, vcc
	v_and_b32_e32 v3, 7, v2
	v_cmp_lt_i32_e32 vcc, 5, v3
	v_cmp_eq_u32_e64 s[0:1], 3, v3
	v_lshrrev_b32_e32 v2, 2, v2
	s_or_b64 vcc, s[0:1], vcc
	v_addc_co_u32_e32 v10, vcc, 0, v2, vcc
	ds_read2_b32 v[2:3], v5 offset0:66 offset1:88
	v_cmp_gt_i32_e32 vcc, 31, v9
	v_cndmask_b32_e32 v10, v4, v10, vcc
	v_cmp_ne_u32_e32 vcc, 0, v7
	v_cndmask_b32_e64 v7, 0, 1, vcc
	s_waitcnt lgkmcnt(0)
	v_lshrrev_b32_e32 v16, 16, v2
	s_waitcnt vmcnt(6)
	v_mul_f16_sdwa v17, v16, v11 dst_sel:DWORD dst_unused:UNUSED_PAD src0_sel:DWORD src1_sel:WORD_1
	v_fma_f16 v17, v2, v11, v17
	v_cvt_f32_f16_e32 v17, v17
	v_lshl_or_b32 v7, v7, 9, v4
	v_cmp_eq_u32_e32 vcc, s16, v9
	v_cndmask_b32_e32 v7, v10, v7, vcc
	v_cvt_f64_f32_e32 v[9:10], v17
	v_lshrrev_b32_e32 v8, 16, v8
	v_and_or_b32 v17, v8, s10, v7
	v_add_co_u32_e32 v0, vcc, s3, v0
	v_mul_f64 v[7:8], v[9:10], s[14:15]
	v_mov_b32_e32 v10, s2
	v_and_b32_e32 v15, 0xffff, v15
	v_addc_co_u32_e32 v1, vcc, v1, v10, vcc
	v_lshl_or_b32 v9, v17, 16, v15
	global_store_dword v[0:1], v9, off
	v_mul_f16_sdwa v2, v2, v11 dst_sel:DWORD dst_unused:UNUSED_PAD src0_sel:DWORD src1_sel:WORD_1
	v_and_or_b32 v7, v8, s18, v7
	v_cmp_ne_u32_e32 vcc, 0, v7
	v_cndmask_b32_e64 v7, 0, 1, vcc
	v_lshrrev_b32_e32 v9, 8, v8
	v_bfe_u32 v10, v8, 20, 11
	v_and_or_b32 v7, v9, s17, v7
	v_sub_u32_e32 v15, 0x3f1, v10
	v_or_b32_e32 v9, 0x1000, v7
	v_med3_i32 v15, v15, 0, 13
	v_lshrrev_b32_e32 v17, v15, v9
	v_lshlrev_b32_e32 v15, v15, v17
	v_cmp_ne_u32_e32 vcc, v15, v9
	v_fma_f16 v2, v11, v16, -v2
	v_cndmask_b32_e64 v9, 0, 1, vcc
	v_add_u32_e32 v15, 0xfffffc10, v10
	v_cvt_f32_f16_e32 v2, v2
	v_or_b32_e32 v9, v17, v9
	v_lshl_or_b32 v10, v15, 12, v7
	v_cmp_gt_i32_e32 vcc, 1, v15
	v_cndmask_b32_e32 v9, v10, v9, vcc
	v_and_b32_e32 v10, 7, v9
	v_cmp_lt_i32_e32 vcc, 5, v10
	v_cmp_eq_u32_e64 s[0:1], 3, v10
	v_lshrrev_b32_e32 v11, 2, v9
	v_cvt_f64_f32_e32 v[9:10], v2
	s_or_b64 vcc, s[0:1], vcc
	v_addc_co_u32_e32 v2, vcc, 0, v11, vcc
	v_mul_f64 v[9:10], v[9:10], s[14:15]
	v_cmp_gt_i32_e32 vcc, 31, v15
	v_cndmask_b32_e32 v2, v4, v2, vcc
	v_cmp_ne_u32_e32 vcc, 0, v7
	v_cndmask_b32_e64 v7, 0, 1, vcc
	v_lshl_or_b32 v7, v7, 9, v4
	v_cmp_eq_u32_e32 vcc, s16, v15
	v_cndmask_b32_e32 v2, v2, v7, vcc
	v_lshrrev_b32_e32 v7, 16, v8
	v_and_or_b32 v2, v7, s10, v2
	v_and_or_b32 v7, v10, s18, v9
	v_cmp_ne_u32_e32 vcc, 0, v7
	v_cndmask_b32_e64 v7, 0, 1, vcc
	v_lshrrev_b32_e32 v8, 8, v10
	v_bfe_u32 v9, v10, 20, 11
	v_and_or_b32 v7, v8, s17, v7
	v_sub_u32_e32 v11, 0x3f1, v9
	v_or_b32_e32 v8, 0x1000, v7
	v_med3_i32 v11, v11, 0, 13
	v_lshrrev_b32_e32 v15, v11, v8
	v_lshlrev_b32_e32 v11, v11, v15
	v_cmp_ne_u32_e32 vcc, v11, v8
	v_cndmask_b32_e64 v8, 0, 1, vcc
	v_add_u32_e32 v9, 0xfffffc10, v9
	v_or_b32_e32 v8, v15, v8
	v_lshl_or_b32 v11, v9, 12, v7
	v_cmp_gt_i32_e32 vcc, 1, v9
	v_cndmask_b32_e32 v8, v11, v8, vcc
	v_and_b32_e32 v11, 7, v8
	v_cmp_lt_i32_e32 vcc, 5, v11
	v_cmp_eq_u32_e64 s[0:1], 3, v11
	v_lshrrev_b32_e32 v11, 16, v3
	v_lshrrev_b32_e32 v8, 2, v8
	s_or_b64 vcc, s[0:1], vcc
	s_waitcnt vmcnt(6)
	v_mul_f16_sdwa v15, v11, v12 dst_sel:DWORD dst_unused:UNUSED_PAD src0_sel:DWORD src1_sel:WORD_1
	v_addc_co_u32_e32 v8, vcc, 0, v8, vcc
	v_fma_f16 v15, v3, v12, v15
	v_cmp_gt_i32_e32 vcc, 31, v9
	v_cvt_f32_f16_e32 v15, v15
	v_cndmask_b32_e32 v8, v4, v8, vcc
	v_cmp_ne_u32_e32 vcc, 0, v7
	v_cndmask_b32_e64 v7, 0, 1, vcc
	v_lshl_or_b32 v7, v7, 9, v4
	v_cmp_eq_u32_e32 vcc, s16, v9
	v_cndmask_b32_e32 v9, v8, v7, vcc
	v_cvt_f64_f32_e32 v[7:8], v15
	v_lshrrev_b32_e32 v10, 16, v10
	v_and_or_b32 v9, v10, s10, v9
	v_and_b32_e32 v2, 0xffff, v2
	v_mul_f64 v[7:8], v[7:8], s[14:15]
	v_lshl_or_b32 v2, v9, 16, v2
	v_mov_b32_e32 v9, s2
	v_add_co_u32_e32 v0, vcc, s3, v0
	v_addc_co_u32_e32 v1, vcc, v1, v9, vcc
	global_store_dword v[0:1], v2, off
	v_and_or_b32 v2, v8, s18, v7
	v_cmp_ne_u32_e32 vcc, 0, v2
	v_cndmask_b32_e64 v2, 0, 1, vcc
	v_lshrrev_b32_e32 v7, 8, v8
	v_bfe_u32 v9, v8, 20, 11
	v_and_or_b32 v7, v7, s17, v2
	v_sub_u32_e32 v10, 0x3f1, v9
	v_or_b32_e32 v2, 0x1000, v7
	v_med3_i32 v10, v10, 0, 13
	v_lshrrev_b32_e32 v15, v10, v2
	v_lshlrev_b32_e32 v10, v10, v15
	v_mul_f16_sdwa v3, v3, v12 dst_sel:DWORD dst_unused:UNUSED_PAD src0_sel:DWORD src1_sel:WORD_1
	v_cmp_ne_u32_e32 vcc, v10, v2
	v_fma_f16 v3, v12, v11, -v3
	v_cndmask_b32_e64 v2, 0, 1, vcc
	v_add_u32_e32 v9, 0xfffffc10, v9
	v_cvt_f32_f16_e32 v3, v3
	v_or_b32_e32 v2, v15, v2
	v_lshl_or_b32 v10, v9, 12, v7
	v_cmp_gt_i32_e32 vcc, 1, v9
	v_cndmask_b32_e32 v2, v10, v2, vcc
	v_and_b32_e32 v10, 7, v2
	v_cmp_lt_i32_e32 vcc, 5, v10
	v_cmp_eq_u32_e64 s[0:1], 3, v10
	v_lshrrev_b32_e32 v10, 2, v2
	v_cvt_f64_f32_e32 v[2:3], v3
	s_or_b64 vcc, s[0:1], vcc
	v_addc_co_u32_e32 v10, vcc, 0, v10, vcc
	v_mul_f64 v[2:3], v[2:3], s[14:15]
	v_cmp_gt_i32_e32 vcc, 31, v9
	v_cndmask_b32_e32 v10, v4, v10, vcc
	v_cmp_ne_u32_e32 vcc, 0, v7
	v_cndmask_b32_e64 v7, 0, 1, vcc
	v_lshl_or_b32 v7, v7, 9, v4
	v_cmp_eq_u32_e32 vcc, s16, v9
	v_cndmask_b32_e32 v7, v10, v7, vcc
	v_and_or_b32 v2, v3, s18, v2
	v_lshrrev_b32_e32 v8, 16, v8
	v_cmp_ne_u32_e32 vcc, 0, v2
	v_and_or_b32 v11, v8, s10, v7
	v_cndmask_b32_e64 v2, 0, 1, vcc
	v_lshrrev_b32_e32 v7, 8, v3
	v_bfe_u32 v8, v3, 20, 11
	v_and_or_b32 v2, v7, s17, v2
	v_sub_u32_e32 v9, 0x3f1, v8
	v_or_b32_e32 v7, 0x1000, v2
	v_med3_i32 v9, v9, 0, 13
	v_lshrrev_b32_e32 v10, v9, v7
	v_lshlrev_b32_e32 v9, v9, v10
	v_cmp_ne_u32_e32 vcc, v9, v7
	v_cndmask_b32_e64 v7, 0, 1, vcc
	v_add_u32_e32 v9, 0xfffffc10, v8
	v_or_b32_e32 v7, v10, v7
	v_lshl_or_b32 v8, v9, 12, v2
	v_cmp_gt_i32_e32 vcc, 1, v9
	v_cndmask_b32_e32 v7, v8, v7, vcc
	v_and_b32_e32 v8, 7, v7
	v_cmp_lt_i32_e32 vcc, 5, v8
	v_cmp_eq_u32_e64 s[0:1], 3, v8
	v_lshrrev_b32_e32 v7, 2, v7
	s_or_b64 vcc, s[0:1], vcc
	v_addc_co_u32_e32 v10, vcc, 0, v7, vcc
	ds_read2_b32 v[7:8], v5 offset0:110 offset1:132
	v_cmp_gt_i32_e32 vcc, 31, v9
	v_cndmask_b32_e32 v10, v4, v10, vcc
	v_cmp_ne_u32_e32 vcc, 0, v2
	v_cndmask_b32_e64 v2, 0, 1, vcc
	s_waitcnt lgkmcnt(0)
	v_lshrrev_b32_e32 v12, 16, v7
	s_waitcnt vmcnt(6)
	v_mul_f16_sdwa v15, v12, v13 dst_sel:DWORD dst_unused:UNUSED_PAD src0_sel:DWORD src1_sel:WORD_1
	v_fma_f16 v15, v7, v13, v15
	v_cvt_f32_f16_e32 v15, v15
	v_lshl_or_b32 v2, v2, 9, v4
	v_cmp_eq_u32_e32 vcc, s16, v9
	v_cndmask_b32_e32 v2, v10, v2, vcc
	v_cvt_f64_f32_e32 v[9:10], v15
	v_lshrrev_b32_e32 v3, 16, v3
	v_and_or_b32 v15, v3, s10, v2
	v_add_co_u32_e32 v0, vcc, s3, v0
	v_mul_f64 v[2:3], v[9:10], s[14:15]
	v_mov_b32_e32 v10, s2
	v_and_b32_e32 v11, 0xffff, v11
	v_addc_co_u32_e32 v1, vcc, v1, v10, vcc
	v_lshl_or_b32 v9, v15, 16, v11
	global_store_dword v[0:1], v9, off
	v_mul_f16_sdwa v7, v7, v13 dst_sel:DWORD dst_unused:UNUSED_PAD src0_sel:DWORD src1_sel:WORD_1
	v_and_or_b32 v2, v3, s18, v2
	v_cmp_ne_u32_e32 vcc, 0, v2
	v_cndmask_b32_e64 v2, 0, 1, vcc
	v_lshrrev_b32_e32 v9, 8, v3
	v_bfe_u32 v10, v3, 20, 11
	v_and_or_b32 v2, v9, s17, v2
	v_sub_u32_e32 v11, 0x3f1, v10
	v_or_b32_e32 v9, 0x1000, v2
	v_med3_i32 v11, v11, 0, 13
	v_lshrrev_b32_e32 v15, v11, v9
	v_lshlrev_b32_e32 v11, v11, v15
	v_cmp_ne_u32_e32 vcc, v11, v9
	v_fma_f16 v7, v13, v12, -v7
	v_cndmask_b32_e64 v9, 0, 1, vcc
	v_add_u32_e32 v11, 0xfffffc10, v10
	v_cvt_f32_f16_e32 v7, v7
	v_or_b32_e32 v9, v15, v9
	v_lshl_or_b32 v10, v11, 12, v2
	v_cmp_gt_i32_e32 vcc, 1, v11
	v_cndmask_b32_e32 v9, v10, v9, vcc
	v_and_b32_e32 v10, 7, v9
	v_cmp_lt_i32_e32 vcc, 5, v10
	v_cmp_eq_u32_e64 s[0:1], 3, v10
	v_lshrrev_b32_e32 v12, 2, v9
	v_cvt_f64_f32_e32 v[9:10], v7
	s_or_b64 vcc, s[0:1], vcc
	v_addc_co_u32_e32 v7, vcc, 0, v12, vcc
	v_mul_f64 v[9:10], v[9:10], s[14:15]
	v_cmp_gt_i32_e32 vcc, 31, v11
	v_cndmask_b32_e32 v7, v4, v7, vcc
	v_cmp_ne_u32_e32 vcc, 0, v2
	v_cndmask_b32_e64 v2, 0, 1, vcc
	v_lshl_or_b32 v2, v2, 9, v4
	v_cmp_eq_u32_e32 vcc, s16, v11
	v_cndmask_b32_e32 v2, v7, v2, vcc
	v_lshrrev_b32_e32 v3, 16, v3
	v_and_or_b32 v7, v3, s10, v2
	v_and_or_b32 v2, v10, s18, v9
	v_cmp_ne_u32_e32 vcc, 0, v2
	v_cndmask_b32_e64 v2, 0, 1, vcc
	v_lshrrev_b32_e32 v3, 8, v10
	v_bfe_u32 v9, v10, 20, 11
	v_and_or_b32 v2, v3, s17, v2
	v_sub_u32_e32 v11, 0x3f1, v9
	v_or_b32_e32 v3, 0x1000, v2
	v_med3_i32 v11, v11, 0, 13
	v_lshrrev_b32_e32 v12, v11, v3
	v_lshlrev_b32_e32 v11, v11, v12
	v_cmp_ne_u32_e32 vcc, v11, v3
	v_cndmask_b32_e64 v3, 0, 1, vcc
	v_add_u32_e32 v9, 0xfffffc10, v9
	v_or_b32_e32 v3, v12, v3
	v_lshl_or_b32 v11, v9, 12, v2
	v_cmp_gt_i32_e32 vcc, 1, v9
	v_cndmask_b32_e32 v3, v11, v3, vcc
	v_and_b32_e32 v11, 7, v3
	v_cmp_lt_i32_e32 vcc, 5, v11
	v_cmp_eq_u32_e64 s[0:1], 3, v11
	v_lshrrev_b32_e32 v11, 16, v8
	v_lshrrev_b32_e32 v3, 2, v3
	s_or_b64 vcc, s[0:1], vcc
	s_waitcnt vmcnt(6)
	v_mul_f16_sdwa v12, v11, v14 dst_sel:DWORD dst_unused:UNUSED_PAD src0_sel:DWORD src1_sel:WORD_1
	v_addc_co_u32_e32 v3, vcc, 0, v3, vcc
	v_fma_f16 v12, v8, v14, v12
	v_cmp_gt_i32_e32 vcc, 31, v9
	v_cvt_f32_f16_e32 v12, v12
	v_cndmask_b32_e32 v3, v4, v3, vcc
	v_cmp_ne_u32_e32 vcc, 0, v2
	v_cndmask_b32_e64 v2, 0, 1, vcc
	v_lshl_or_b32 v2, v2, 9, v4
	v_cmp_eq_u32_e32 vcc, s16, v9
	v_cndmask_b32_e32 v9, v3, v2, vcc
	v_cvt_f64_f32_e32 v[2:3], v12
	v_lshrrev_b32_e32 v10, 16, v10
	v_and_or_b32 v9, v10, s10, v9
	v_and_b32_e32 v7, 0xffff, v7
	v_mul_f64 v[2:3], v[2:3], s[14:15]
	v_lshl_or_b32 v7, v9, 16, v7
	v_mov_b32_e32 v9, s2
	v_add_co_u32_e32 v0, vcc, s3, v0
	v_addc_co_u32_e32 v1, vcc, v1, v9, vcc
	global_store_dword v[0:1], v7, off
	v_and_or_b32 v2, v3, s18, v2
	v_cmp_ne_u32_e32 vcc, 0, v2
	v_cndmask_b32_e64 v2, 0, 1, vcc
	v_lshrrev_b32_e32 v7, 8, v3
	v_bfe_u32 v9, v3, 20, 11
	v_and_or_b32 v2, v7, s17, v2
	v_sub_u32_e32 v10, 0x3f1, v9
	v_or_b32_e32 v7, 0x1000, v2
	v_med3_i32 v10, v10, 0, 13
	v_lshrrev_b32_e32 v12, v10, v7
	v_lshlrev_b32_e32 v10, v10, v12
	v_mul_f16_sdwa v8, v8, v14 dst_sel:DWORD dst_unused:UNUSED_PAD src0_sel:DWORD src1_sel:WORD_1
	v_cmp_ne_u32_e32 vcc, v10, v7
	v_fma_f16 v8, v14, v11, -v8
	v_cndmask_b32_e64 v7, 0, 1, vcc
	v_add_u32_e32 v9, 0xfffffc10, v9
	v_cvt_f32_f16_e32 v8, v8
	v_or_b32_e32 v7, v12, v7
	v_lshl_or_b32 v10, v9, 12, v2
	v_cmp_gt_i32_e32 vcc, 1, v9
	v_cndmask_b32_e32 v7, v10, v7, vcc
	v_and_b32_e32 v10, 7, v7
	v_cmp_lt_i32_e32 vcc, 5, v10
	v_cmp_eq_u32_e64 s[0:1], 3, v10
	v_lshrrev_b32_e32 v10, 2, v7
	v_cvt_f64_f32_e32 v[7:8], v8
	s_or_b64 vcc, s[0:1], vcc
	v_addc_co_u32_e32 v10, vcc, 0, v10, vcc
	v_mul_f64 v[7:8], v[7:8], s[14:15]
	v_cmp_gt_i32_e32 vcc, 31, v9
	v_cndmask_b32_e32 v10, v4, v10, vcc
	v_cmp_ne_u32_e32 vcc, 0, v2
	v_cndmask_b32_e64 v2, 0, 1, vcc
	v_lshl_or_b32 v2, v2, 9, v4
	v_cmp_eq_u32_e32 vcc, s16, v9
	v_cndmask_b32_e32 v2, v10, v2, vcc
	v_lshrrev_b32_e32 v3, 16, v3
	v_and_or_b32 v11, v3, s10, v2
	v_and_or_b32 v2, v8, s18, v7
	v_cmp_ne_u32_e32 vcc, 0, v2
	v_cndmask_b32_e64 v2, 0, 1, vcc
	v_lshrrev_b32_e32 v3, 8, v8
	v_and_or_b32 v7, v3, s17, v2
	v_bfe_u32 v3, v8, 20, 11
	v_sub_u32_e32 v9, 0x3f1, v3
	v_or_b32_e32 v2, 0x1000, v7
	v_med3_i32 v9, v9, 0, 13
	v_lshrrev_b32_e32 v10, v9, v2
	v_lshlrev_b32_e32 v9, v9, v10
	v_cmp_ne_u32_e32 vcc, v9, v2
	v_cndmask_b32_e64 v2, 0, 1, vcc
	v_add_u32_e32 v9, 0xfffffc10, v3
	v_or_b32_e32 v2, v10, v2
	v_lshl_or_b32 v3, v9, 12, v7
	v_cmp_gt_i32_e32 vcc, 1, v9
	v_cndmask_b32_e32 v2, v3, v2, vcc
	v_and_b32_e32 v3, 7, v2
	v_cmp_lt_i32_e32 vcc, 5, v3
	v_cmp_eq_u32_e64 s[0:1], 3, v3
	v_lshrrev_b32_e32 v2, 2, v2
	s_or_b64 vcc, s[0:1], vcc
	v_addc_co_u32_e32 v10, vcc, 0, v2, vcc
	ds_read2_b32 v[2:3], v5 offset0:154 offset1:176
	v_cmp_gt_i32_e32 vcc, 31, v9
	v_cndmask_b32_e32 v10, v4, v10, vcc
	v_cmp_ne_u32_e32 vcc, 0, v7
	v_cndmask_b32_e64 v7, 0, 1, vcc
	s_waitcnt lgkmcnt(0)
	v_lshrrev_b32_e32 v12, 16, v2
	s_waitcnt vmcnt(6)
	v_mul_f16_sdwa v13, v12, v6 dst_sel:DWORD dst_unused:UNUSED_PAD src0_sel:DWORD src1_sel:WORD_1
	v_fma_f16 v13, v2, v6, v13
	v_cvt_f32_f16_e32 v13, v13
	v_lshl_or_b32 v7, v7, 9, v4
	v_cmp_eq_u32_e32 vcc, s16, v9
	v_cndmask_b32_e32 v7, v10, v7, vcc
	v_cvt_f64_f32_e32 v[9:10], v13
	v_lshrrev_b32_e32 v8, 16, v8
	v_and_or_b32 v13, v8, s10, v7
	v_and_b32_e32 v11, 0xffff, v11
	v_mul_f64 v[7:8], v[9:10], s[14:15]
	global_load_dword v10, v27, s[6:7] offset:704
	v_lshl_or_b32 v9, v13, 16, v11
	v_mov_b32_e32 v11, s2
	v_add_co_u32_e32 v0, vcc, s3, v0
	v_addc_co_u32_e32 v1, vcc, v1, v11, vcc
	v_and_or_b32 v7, v8, s18, v7
	v_cmp_ne_u32_e32 vcc, 0, v7
	global_store_dword v[0:1], v9, off
	v_cndmask_b32_e64 v7, 0, 1, vcc
	v_lshrrev_b32_e32 v9, 8, v8
	v_bfe_u32 v11, v8, 20, 11
	v_and_or_b32 v9, v9, s17, v7
	v_sub_u32_e32 v13, 0x3f1, v11
	v_or_b32_e32 v7, 0x1000, v9
	v_med3_i32 v13, v13, 0, 13
	v_lshrrev_b32_e32 v14, v13, v7
	v_mul_f16_sdwa v2, v2, v6 dst_sel:DWORD dst_unused:UNUSED_PAD src0_sel:DWORD src1_sel:WORD_1
	v_lshlrev_b32_e32 v13, v13, v14
	v_fma_f16 v2, v6, v12, -v2
	v_cmp_ne_u32_e32 vcc, v13, v7
	v_cvt_f32_f16_e32 v2, v2
	v_cndmask_b32_e64 v7, 0, 1, vcc
	v_add_u32_e32 v11, 0xfffffc10, v11
	v_or_b32_e32 v7, v14, v7
	v_lshl_or_b32 v13, v11, 12, v9
	v_cmp_gt_i32_e32 vcc, 1, v11
	v_cndmask_b32_e32 v7, v13, v7, vcc
	v_and_b32_e32 v13, 7, v7
	v_lshrrev_b32_e32 v12, 2, v7
	v_cvt_f64_f32_e32 v[6:7], v2
	v_cmp_lt_i32_e32 vcc, 5, v13
	v_cmp_eq_u32_e64 s[0:1], 3, v13
	s_or_b64 vcc, s[0:1], vcc
	v_mul_f64 v[6:7], v[6:7], s[14:15]
	v_addc_co_u32_e32 v2, vcc, 0, v12, vcc
	v_cmp_gt_i32_e32 vcc, 31, v11
	v_cndmask_b32_e32 v2, v4, v2, vcc
	v_cmp_ne_u32_e32 vcc, 0, v9
	v_cndmask_b32_e64 v9, 0, 1, vcc
	v_lshl_or_b32 v9, v9, 9, v4
	v_cmp_eq_u32_e32 vcc, s16, v11
	v_and_or_b32 v6, v7, s18, v6
	v_cndmask_b32_e32 v2, v2, v9, vcc
	v_lshrrev_b32_e32 v8, 16, v8
	v_cmp_ne_u32_e32 vcc, 0, v6
	v_and_or_b32 v2, v8, s10, v2
	v_cndmask_b32_e64 v6, 0, 1, vcc
	v_lshrrev_b32_e32 v8, 8, v7
	v_bfe_u32 v9, v7, 20, 11
	v_and_or_b32 v6, v8, s17, v6
	v_sub_u32_e32 v11, 0x3f1, v9
	v_or_b32_e32 v8, 0x1000, v6
	v_med3_i32 v11, v11, 0, 13
	v_lshrrev_b32_e32 v12, v11, v8
	v_lshlrev_b32_e32 v11, v11, v12
	v_cmp_ne_u32_e32 vcc, v11, v8
	v_cndmask_b32_e64 v8, 0, 1, vcc
	v_or_b32_e32 v8, v12, v8
	global_load_dword v12, v27, s[6:7] offset:792
	global_load_dword v13, v27, s[6:7] offset:880
	;; [unrolled: 1-line block ×3, first 2 shown]
	v_add_u32_e32 v9, 0xfffffc10, v9
	v_lshl_or_b32 v11, v9, 12, v6
	v_cmp_gt_i32_e32 vcc, 1, v9
	v_cndmask_b32_e32 v8, v11, v8, vcc
	v_and_b32_e32 v11, 7, v8
	v_cmp_lt_i32_e32 vcc, 5, v11
	v_cmp_eq_u32_e64 s[0:1], 3, v11
	v_lshrrev_b32_e32 v11, 16, v3
	v_lshrrev_b32_e32 v8, 2, v8
	s_or_b64 vcc, s[0:1], vcc
	v_addc_co_u32_e32 v8, vcc, 0, v8, vcc
	v_cmp_gt_i32_e32 vcc, 31, v9
	v_cndmask_b32_e32 v8, v4, v8, vcc
	v_cmp_ne_u32_e32 vcc, 0, v6
	v_cndmask_b32_e64 v6, 0, 1, vcc
	v_lshl_or_b32 v6, v6, 9, v4
	v_cmp_eq_u32_e32 vcc, s16, v9
	s_waitcnt vmcnt(4)
	v_mul_f16_sdwa v15, v11, v10 dst_sel:DWORD dst_unused:UNUSED_PAD src0_sel:DWORD src1_sel:WORD_1
	v_fma_f16 v15, v3, v10, v15
	v_cvt_f32_f16_e32 v15, v15
	v_cndmask_b32_e32 v6, v8, v6, vcc
	v_lshrrev_b32_e32 v7, 16, v7
	v_and_b32_e32 v2, 0xffff, v2
	v_cvt_f64_f32_e32 v[8:9], v15
	v_and_or_b32 v15, v7, s10, v6
	v_add_co_u32_e32 v0, vcc, s3, v0
	v_mul_f64 v[6:7], v[8:9], s[14:15]
	v_mov_b32_e32 v8, s2
	v_lshl_or_b32 v2, v15, 16, v2
	v_addc_co_u32_e32 v1, vcc, v1, v8, vcc
	global_store_dword v[0:1], v2, off
	v_mul_f16_sdwa v3, v3, v10 dst_sel:DWORD dst_unused:UNUSED_PAD src0_sel:DWORD src1_sel:WORD_1
	v_fma_f16 v3, v10, v11, -v3
	v_and_or_b32 v2, v7, s18, v6
	v_cmp_ne_u32_e32 vcc, 0, v2
	v_cndmask_b32_e64 v2, 0, 1, vcc
	v_lshrrev_b32_e32 v6, 8, v7
	v_bfe_u32 v8, v7, 20, 11
	v_and_or_b32 v6, v6, s17, v2
	v_sub_u32_e32 v9, 0x3f1, v8
	v_or_b32_e32 v2, 0x1000, v6
	v_med3_i32 v9, v9, 0, 13
	v_lshrrev_b32_e32 v15, v9, v2
	v_lshlrev_b32_e32 v9, v9, v15
	v_cmp_ne_u32_e32 vcc, v9, v2
	v_cndmask_b32_e64 v2, 0, 1, vcc
	v_add_u32_e32 v8, 0xfffffc10, v8
	v_cvt_f32_f16_e32 v3, v3
	v_or_b32_e32 v2, v15, v2
	v_lshl_or_b32 v9, v8, 12, v6
	v_cmp_gt_i32_e32 vcc, 1, v8
	v_cndmask_b32_e32 v2, v9, v2, vcc
	v_and_b32_e32 v9, 7, v2
	v_cmp_lt_i32_e32 vcc, 5, v9
	v_cmp_eq_u32_e64 s[0:1], 3, v9
	v_lshrrev_b32_e32 v9, 2, v2
	v_cvt_f64_f32_e32 v[2:3], v3
	s_or_b64 vcc, s[0:1], vcc
	v_addc_co_u32_e32 v9, vcc, 0, v9, vcc
	v_mul_f64 v[2:3], v[2:3], s[14:15]
	v_cmp_gt_i32_e32 vcc, 31, v8
	v_cndmask_b32_e32 v9, v4, v9, vcc
	v_cmp_ne_u32_e32 vcc, 0, v6
	v_cndmask_b32_e64 v6, 0, 1, vcc
	v_lshl_or_b32 v6, v6, 9, v4
	v_cmp_eq_u32_e32 vcc, s16, v8
	v_cndmask_b32_e32 v6, v9, v6, vcc
	v_and_or_b32 v2, v3, s18, v2
	v_lshrrev_b32_e32 v7, 16, v7
	v_cmp_ne_u32_e32 vcc, 0, v2
	v_and_or_b32 v10, v7, s10, v6
	v_cndmask_b32_e64 v2, 0, 1, vcc
	v_lshrrev_b32_e32 v6, 8, v3
	v_bfe_u32 v7, v3, 20, 11
	v_and_or_b32 v2, v6, s17, v2
	v_sub_u32_e32 v8, 0x3f1, v7
	v_or_b32_e32 v6, 0x1000, v2
	v_med3_i32 v8, v8, 0, 13
	v_lshrrev_b32_e32 v9, v8, v6
	v_lshlrev_b32_e32 v8, v8, v9
	v_cmp_ne_u32_e32 vcc, v8, v6
	v_cndmask_b32_e64 v6, 0, 1, vcc
	v_add_u32_e32 v8, 0xfffffc10, v7
	v_or_b32_e32 v6, v9, v6
	v_lshl_or_b32 v7, v8, 12, v2
	v_cmp_gt_i32_e32 vcc, 1, v8
	v_cndmask_b32_e32 v6, v7, v6, vcc
	v_and_b32_e32 v7, 7, v6
	v_cmp_lt_i32_e32 vcc, 5, v7
	v_cmp_eq_u32_e64 s[0:1], 3, v7
	v_lshrrev_b32_e32 v6, 2, v6
	s_or_b64 vcc, s[0:1], vcc
	v_addc_co_u32_e32 v9, vcc, 0, v6, vcc
	ds_read2_b32 v[6:7], v5 offset0:198 offset1:220
	v_cmp_gt_i32_e32 vcc, 31, v8
	v_cndmask_b32_e32 v9, v4, v9, vcc
	v_cmp_ne_u32_e32 vcc, 0, v2
	v_cndmask_b32_e64 v2, 0, 1, vcc
	s_waitcnt lgkmcnt(0)
	v_lshrrev_b32_e32 v11, 16, v6
	s_waitcnt vmcnt(3)
	v_mul_f16_sdwa v15, v11, v12 dst_sel:DWORD dst_unused:UNUSED_PAD src0_sel:DWORD src1_sel:WORD_1
	v_fma_f16 v15, v6, v12, v15
	v_cvt_f32_f16_e32 v15, v15
	v_lshl_or_b32 v2, v2, 9, v4
	v_cmp_eq_u32_e32 vcc, s16, v8
	v_cndmask_b32_e32 v2, v9, v2, vcc
	v_cvt_f64_f32_e32 v[8:9], v15
	v_lshrrev_b32_e32 v3, 16, v3
	v_and_or_b32 v15, v3, s10, v2
	v_add_co_u32_e32 v0, vcc, s3, v0
	v_mul_f64 v[2:3], v[8:9], s[14:15]
	v_mov_b32_e32 v9, s2
	v_and_b32_e32 v10, 0xffff, v10
	v_addc_co_u32_e32 v1, vcc, v1, v9, vcc
	v_lshl_or_b32 v8, v15, 16, v10
	global_store_dword v[0:1], v8, off
	v_mul_f16_sdwa v6, v6, v12 dst_sel:DWORD dst_unused:UNUSED_PAD src0_sel:DWORD src1_sel:WORD_1
	v_and_or_b32 v2, v3, s18, v2
	v_cmp_ne_u32_e32 vcc, 0, v2
	v_cndmask_b32_e64 v2, 0, 1, vcc
	v_lshrrev_b32_e32 v8, 8, v3
	v_bfe_u32 v9, v3, 20, 11
	v_and_or_b32 v2, v8, s17, v2
	v_sub_u32_e32 v10, 0x3f1, v9
	v_or_b32_e32 v8, 0x1000, v2
	v_med3_i32 v10, v10, 0, 13
	v_lshrrev_b32_e32 v15, v10, v8
	v_lshlrev_b32_e32 v10, v10, v15
	v_cmp_ne_u32_e32 vcc, v10, v8
	v_fma_f16 v6, v12, v11, -v6
	v_cndmask_b32_e64 v8, 0, 1, vcc
	v_add_u32_e32 v10, 0xfffffc10, v9
	v_cvt_f32_f16_e32 v6, v6
	v_or_b32_e32 v8, v15, v8
	v_lshl_or_b32 v9, v10, 12, v2
	v_cmp_gt_i32_e32 vcc, 1, v10
	v_cndmask_b32_e32 v8, v9, v8, vcc
	v_and_b32_e32 v9, 7, v8
	v_cmp_lt_i32_e32 vcc, 5, v9
	v_cmp_eq_u32_e64 s[0:1], 3, v9
	v_lshrrev_b32_e32 v11, 2, v8
	v_cvt_f64_f32_e32 v[8:9], v6
	s_or_b64 vcc, s[0:1], vcc
	v_addc_co_u32_e32 v6, vcc, 0, v11, vcc
	v_mul_f64 v[8:9], v[8:9], s[14:15]
	v_cmp_gt_i32_e32 vcc, 31, v10
	v_cndmask_b32_e32 v6, v4, v6, vcc
	v_cmp_ne_u32_e32 vcc, 0, v2
	v_cndmask_b32_e64 v2, 0, 1, vcc
	v_lshl_or_b32 v2, v2, 9, v4
	v_cmp_eq_u32_e32 vcc, s16, v10
	v_cndmask_b32_e32 v2, v6, v2, vcc
	v_lshrrev_b32_e32 v3, 16, v3
	v_and_or_b32 v6, v3, s10, v2
	v_and_or_b32 v2, v9, s18, v8
	v_cmp_ne_u32_e32 vcc, 0, v2
	v_cndmask_b32_e64 v2, 0, 1, vcc
	v_lshrrev_b32_e32 v3, 8, v9
	v_bfe_u32 v8, v9, 20, 11
	v_and_or_b32 v2, v3, s17, v2
	v_sub_u32_e32 v10, 0x3f1, v8
	v_or_b32_e32 v3, 0x1000, v2
	v_med3_i32 v10, v10, 0, 13
	v_lshrrev_b32_e32 v11, v10, v3
	v_lshlrev_b32_e32 v10, v10, v11
	v_cmp_ne_u32_e32 vcc, v10, v3
	v_cndmask_b32_e64 v3, 0, 1, vcc
	v_add_u32_e32 v8, 0xfffffc10, v8
	v_or_b32_e32 v3, v11, v3
	v_lshl_or_b32 v10, v8, 12, v2
	v_cmp_gt_i32_e32 vcc, 1, v8
	v_cndmask_b32_e32 v3, v10, v3, vcc
	v_and_b32_e32 v10, 7, v3
	v_cmp_lt_i32_e32 vcc, 5, v10
	v_cmp_eq_u32_e64 s[0:1], 3, v10
	v_lshrrev_b32_e32 v10, 16, v7
	v_lshrrev_b32_e32 v3, 2, v3
	s_or_b64 vcc, s[0:1], vcc
	s_waitcnt vmcnt(3)
	v_mul_f16_sdwa v11, v10, v13 dst_sel:DWORD dst_unused:UNUSED_PAD src0_sel:DWORD src1_sel:WORD_1
	v_addc_co_u32_e32 v3, vcc, 0, v3, vcc
	v_fma_f16 v11, v7, v13, v11
	v_cmp_gt_i32_e32 vcc, 31, v8
	v_cvt_f32_f16_e32 v11, v11
	v_cndmask_b32_e32 v3, v4, v3, vcc
	v_cmp_ne_u32_e32 vcc, 0, v2
	v_cndmask_b32_e64 v2, 0, 1, vcc
	v_lshl_or_b32 v2, v2, 9, v4
	v_cmp_eq_u32_e32 vcc, s16, v8
	v_cndmask_b32_e32 v8, v3, v2, vcc
	v_cvt_f64_f32_e32 v[2:3], v11
	v_lshrrev_b32_e32 v9, 16, v9
	v_and_or_b32 v8, v9, s10, v8
	v_and_b32_e32 v6, 0xffff, v6
	v_mul_f64 v[2:3], v[2:3], s[14:15]
	v_lshl_or_b32 v6, v8, 16, v6
	v_mov_b32_e32 v8, s2
	v_add_co_u32_e32 v0, vcc, s3, v0
	v_addc_co_u32_e32 v1, vcc, v1, v8, vcc
	global_store_dword v[0:1], v6, off
	v_and_or_b32 v2, v3, s18, v2
	v_cmp_ne_u32_e32 vcc, 0, v2
	v_cndmask_b32_e64 v2, 0, 1, vcc
	v_lshrrev_b32_e32 v6, 8, v3
	v_bfe_u32 v8, v3, 20, 11
	v_and_or_b32 v2, v6, s17, v2
	v_sub_u32_e32 v9, 0x3f1, v8
	v_or_b32_e32 v6, 0x1000, v2
	v_med3_i32 v9, v9, 0, 13
	v_lshrrev_b32_e32 v11, v9, v6
	v_lshlrev_b32_e32 v9, v9, v11
	v_mul_f16_sdwa v7, v7, v13 dst_sel:DWORD dst_unused:UNUSED_PAD src0_sel:DWORD src1_sel:WORD_1
	v_cmp_ne_u32_e32 vcc, v9, v6
	v_fma_f16 v7, v13, v10, -v7
	v_cndmask_b32_e64 v6, 0, 1, vcc
	v_add_u32_e32 v8, 0xfffffc10, v8
	v_cvt_f32_f16_e32 v7, v7
	v_or_b32_e32 v6, v11, v6
	v_lshl_or_b32 v9, v8, 12, v2
	v_cmp_gt_i32_e32 vcc, 1, v8
	v_cndmask_b32_e32 v6, v9, v6, vcc
	v_and_b32_e32 v9, 7, v6
	v_cmp_lt_i32_e32 vcc, 5, v9
	v_cmp_eq_u32_e64 s[0:1], 3, v9
	v_lshrrev_b32_e32 v9, 2, v6
	v_cvt_f64_f32_e32 v[6:7], v7
	s_or_b64 vcc, s[0:1], vcc
	v_addc_co_u32_e32 v9, vcc, 0, v9, vcc
	v_mul_f64 v[6:7], v[6:7], s[14:15]
	v_cmp_gt_i32_e32 vcc, 31, v8
	v_cndmask_b32_e32 v9, v4, v9, vcc
	v_cmp_ne_u32_e32 vcc, 0, v2
	v_cndmask_b32_e64 v2, 0, 1, vcc
	v_lshl_or_b32 v2, v2, 9, v4
	v_cmp_eq_u32_e32 vcc, s16, v8
	v_cndmask_b32_e32 v2, v9, v2, vcc
	v_lshrrev_b32_e32 v3, 16, v3
	v_and_or_b32 v8, v3, s10, v2
	v_and_or_b32 v2, v7, s18, v6
	v_cmp_ne_u32_e32 vcc, 0, v2
	v_cndmask_b32_e64 v2, 0, 1, vcc
	v_lshrrev_b32_e32 v3, 8, v7
	v_and_or_b32 v6, v3, s17, v2
	v_bfe_u32 v3, v7, 20, 11
	v_sub_u32_e32 v9, 0x3f1, v3
	v_or_b32_e32 v2, 0x1000, v6
	v_med3_i32 v9, v9, 0, 13
	v_lshrrev_b32_e32 v10, v9, v2
	v_lshlrev_b32_e32 v9, v9, v10
	v_cmp_ne_u32_e32 vcc, v9, v2
	v_cndmask_b32_e64 v2, 0, 1, vcc
	v_add_u32_e32 v9, 0xfffffc10, v3
	v_or_b32_e32 v2, v10, v2
	v_lshl_or_b32 v3, v9, 12, v6
	v_cmp_gt_i32_e32 vcc, 1, v9
	v_cndmask_b32_e32 v2, v3, v2, vcc
	v_and_b32_e32 v3, 7, v2
	v_cmp_lt_i32_e32 vcc, 5, v3
	v_cmp_eq_u32_e64 s[0:1], 3, v3
	v_lshrrev_b32_e32 v2, 2, v2
	s_or_b64 vcc, s[0:1], vcc
	v_addc_co_u32_e32 v10, vcc, 0, v2, vcc
	v_add_u32_e32 v2, 0x200, v5
	ds_read2_b32 v[2:3], v2 offset0:114 offset1:136
	v_cmp_gt_i32_e32 vcc, 31, v9
	v_cndmask_b32_e32 v5, v4, v10, vcc
	v_cmp_ne_u32_e32 vcc, 0, v6
	v_cndmask_b32_e64 v6, 0, 1, vcc
	s_waitcnt lgkmcnt(0)
	v_lshrrev_b32_e32 v10, 16, v2
	s_waitcnt vmcnt(3)
	v_mul_f16_sdwa v11, v10, v14 dst_sel:DWORD dst_unused:UNUSED_PAD src0_sel:DWORD src1_sel:WORD_1
	v_fma_f16 v11, v2, v14, v11
	v_cvt_f32_f16_e32 v11, v11
	v_lshl_or_b32 v6, v6, 9, v4
	v_cmp_eq_u32_e32 vcc, s16, v9
	v_cndmask_b32_e32 v9, v5, v6, vcc
	v_cvt_f64_f32_e32 v[5:6], v11
	v_lshrrev_b32_e32 v7, 16, v7
	v_and_or_b32 v7, v7, s10, v9
	v_and_b32_e32 v8, 0xffff, v8
	v_mul_f64 v[5:6], v[5:6], s[14:15]
	v_lshl_or_b32 v7, v7, 16, v8
	v_mov_b32_e32 v8, s2
	v_add_co_u32_e32 v0, vcc, s3, v0
	v_addc_co_u32_e32 v1, vcc, v1, v8, vcc
	global_store_dword v[0:1], v7, off
	v_and_or_b32 v5, v6, s18, v5
	v_cmp_ne_u32_e32 vcc, 0, v5
	v_cndmask_b32_e64 v5, 0, 1, vcc
	v_lshrrev_b32_e32 v7, 8, v6
	v_bfe_u32 v8, v6, 20, 11
	v_and_or_b32 v5, v7, s17, v5
	v_sub_u32_e32 v9, 0x3f1, v8
	v_or_b32_e32 v7, 0x1000, v5
	v_med3_i32 v9, v9, 0, 13
	v_lshrrev_b32_e32 v11, v9, v7
	v_lshlrev_b32_e32 v9, v9, v11
	v_mul_f16_sdwa v2, v2, v14 dst_sel:DWORD dst_unused:UNUSED_PAD src0_sel:DWORD src1_sel:WORD_1
	v_cmp_ne_u32_e32 vcc, v9, v7
	v_fma_f16 v2, v14, v10, -v2
	v_cndmask_b32_e64 v7, 0, 1, vcc
	v_add_u32_e32 v9, 0xfffffc10, v8
	v_cvt_f32_f16_e32 v2, v2
	v_or_b32_e32 v7, v11, v7
	v_lshl_or_b32 v8, v9, 12, v5
	v_cmp_gt_i32_e32 vcc, 1, v9
	v_cndmask_b32_e32 v7, v8, v7, vcc
	v_and_b32_e32 v8, 7, v7
	v_cmp_lt_i32_e32 vcc, 5, v8
	v_cmp_eq_u32_e64 s[0:1], 3, v8
	v_lshrrev_b32_e32 v10, 2, v7
	v_cvt_f64_f32_e32 v[7:8], v2
	s_or_b64 vcc, s[0:1], vcc
	v_addc_co_u32_e32 v2, vcc, 0, v10, vcc
	v_mul_f64 v[7:8], v[7:8], s[14:15]
	v_cmp_gt_i32_e32 vcc, 31, v9
	v_cndmask_b32_e32 v2, v4, v2, vcc
	v_cmp_ne_u32_e32 vcc, 0, v5
	v_cndmask_b32_e64 v5, 0, 1, vcc
	v_lshl_or_b32 v5, v5, 9, v4
	v_cmp_eq_u32_e32 vcc, s16, v9
	v_cndmask_b32_e32 v2, v2, v5, vcc
	v_lshrrev_b32_e32 v5, 16, v6
	v_and_or_b32 v2, v5, s10, v2
	v_and_or_b32 v5, v8, s18, v7
	v_cmp_ne_u32_e32 vcc, 0, v5
	v_cndmask_b32_e64 v5, 0, 1, vcc
	v_lshrrev_b32_e32 v6, 8, v8
	v_bfe_u32 v7, v8, 20, 11
	v_and_or_b32 v5, v6, s17, v5
	v_sub_u32_e32 v9, 0x3f1, v7
	v_or_b32_e32 v6, 0x1000, v5
	v_med3_i32 v9, v9, 0, 13
	v_lshrrev_b32_e32 v10, v9, v6
	v_lshlrev_b32_e32 v9, v9, v10
	v_cmp_ne_u32_e32 vcc, v9, v6
	v_cndmask_b32_e64 v6, 0, 1, vcc
	v_add_u32_e32 v7, 0xfffffc10, v7
	v_or_b32_e32 v6, v10, v6
	v_lshl_or_b32 v9, v7, 12, v5
	v_cmp_gt_i32_e32 vcc, 1, v7
	v_cndmask_b32_e32 v6, v9, v6, vcc
	v_and_b32_e32 v9, 7, v6
	v_cmp_lt_i32_e32 vcc, 5, v9
	v_cmp_eq_u32_e64 s[0:1], 3, v9
	v_lshrrev_b32_e32 v6, 2, v6
	s_or_b64 vcc, s[0:1], vcc
	v_addc_co_u32_e32 v6, vcc, 0, v6, vcc
	v_cmp_gt_i32_e32 vcc, 31, v7
	v_cndmask_b32_e32 v6, v4, v6, vcc
	v_cmp_ne_u32_e32 vcc, 0, v5
	v_cndmask_b32_e64 v5, 0, 1, vcc
	v_lshl_or_b32 v5, v5, 9, v4
	v_cmp_eq_u32_e32 vcc, s16, v7
	v_cndmask_b32_e32 v5, v6, v5, vcc
	v_lshrrev_b32_e32 v6, 16, v8
	v_and_or_b32 v5, v6, s10, v5
	v_and_b32_e32 v2, 0xffff, v2
	v_lshl_or_b32 v2, v5, 16, v2
	v_mov_b32_e32 v5, s2
	v_add_co_u32_e32 v0, vcc, s3, v0
	v_addc_co_u32_e32 v1, vcc, v1, v5, vcc
	global_store_dword v[0:1], v2, off
	global_load_dword v2, v27, s[6:7] offset:1056
	v_lshrrev_b32_e32 v7, 16, v3
	s_waitcnt vmcnt(0)
	v_mul_f16_sdwa v5, v7, v2 dst_sel:DWORD dst_unused:UNUSED_PAD src0_sel:DWORD src1_sel:WORD_1
	v_fma_f16 v5, v3, v2, v5
	v_cvt_f32_f16_e32 v5, v5
	v_mul_f16_sdwa v3, v3, v2 dst_sel:DWORD dst_unused:UNUSED_PAD src0_sel:DWORD src1_sel:WORD_1
	v_fma_f16 v2, v2, v7, -v3
	v_cvt_f32_f16_e32 v2, v2
	v_cvt_f64_f32_e32 v[5:6], v5
	v_cvt_f64_f32_e32 v[2:3], v2
	v_mul_f64 v[5:6], v[5:6], s[14:15]
	v_mul_f64 v[2:3], v[2:3], s[14:15]
	v_and_or_b32 v5, v6, s18, v5
	v_cmp_ne_u32_e32 vcc, 0, v5
	v_cndmask_b32_e64 v5, 0, 1, vcc
	v_lshrrev_b32_e32 v8, 8, v6
	v_bfe_u32 v9, v6, 20, 11
	v_and_or_b32 v5, v8, s17, v5
	v_sub_u32_e32 v10, 0x3f1, v9
	v_or_b32_e32 v8, 0x1000, v5
	v_med3_i32 v10, v10, 0, 13
	v_lshrrev_b32_e32 v11, v10, v8
	v_lshlrev_b32_e32 v10, v10, v11
	v_cmp_ne_u32_e32 vcc, v10, v8
	v_cndmask_b32_e64 v8, 0, 1, vcc
	v_add_u32_e32 v9, 0xfffffc10, v9
	v_or_b32_e32 v8, v11, v8
	v_lshl_or_b32 v10, v9, 12, v5
	v_cmp_gt_i32_e32 vcc, 1, v9
	v_cndmask_b32_e32 v8, v10, v8, vcc
	v_and_b32_e32 v10, 7, v8
	v_cmp_lt_i32_e32 vcc, 5, v10
	v_cmp_eq_u32_e64 s[0:1], 3, v10
	v_lshrrev_b32_e32 v7, 2, v8
	s_or_b64 vcc, s[0:1], vcc
	v_addc_co_u32_e32 v7, vcc, 0, v7, vcc
	v_cmp_gt_i32_e32 vcc, 31, v9
	v_cndmask_b32_e32 v7, v4, v7, vcc
	v_cmp_ne_u32_e32 vcc, 0, v5
	v_cndmask_b32_e64 v5, 0, 1, vcc
	v_lshl_or_b32 v5, v5, 9, v4
	v_cmp_eq_u32_e32 vcc, s16, v9
	v_and_or_b32 v2, v3, s18, v2
	v_cndmask_b32_e32 v5, v7, v5, vcc
	v_lshrrev_b32_e32 v6, 16, v6
	v_cmp_ne_u32_e32 vcc, 0, v2
	v_and_or_b32 v5, v6, s10, v5
	v_cndmask_b32_e64 v2, 0, 1, vcc
	v_lshrrev_b32_e32 v6, 8, v3
	v_bfe_u32 v7, v3, 20, 11
	v_and_or_b32 v2, v6, s17, v2
	v_sub_u32_e32 v8, 0x3f1, v7
	v_or_b32_e32 v6, 0x1000, v2
	v_med3_i32 v8, v8, 0, 13
	v_lshrrev_b32_e32 v9, v8, v6
	v_lshlrev_b32_e32 v8, v8, v9
	v_cmp_ne_u32_e32 vcc, v8, v6
	v_cndmask_b32_e64 v6, 0, 1, vcc
	v_add_u32_e32 v7, 0xfffffc10, v7
	v_or_b32_e32 v6, v9, v6
	v_lshl_or_b32 v8, v7, 12, v2
	v_cmp_gt_i32_e32 vcc, 1, v7
	v_cndmask_b32_e32 v6, v8, v6, vcc
	v_and_b32_e32 v8, 7, v6
	v_cmp_lt_i32_e32 vcc, 5, v8
	v_cmp_eq_u32_e64 s[0:1], 3, v8
	v_lshrrev_b32_e32 v6, 2, v6
	s_or_b64 vcc, s[0:1], vcc
	v_addc_co_u32_e32 v6, vcc, 0, v6, vcc
	v_cmp_gt_i32_e32 vcc, 31, v7
	v_cndmask_b32_e32 v6, v4, v6, vcc
	v_cmp_ne_u32_e32 vcc, 0, v2
	v_cndmask_b32_e64 v2, 0, 1, vcc
	v_lshl_or_b32 v2, v2, 9, v4
	v_cmp_eq_u32_e32 vcc, s16, v7
	v_cndmask_b32_e32 v2, v6, v2, vcc
	v_lshrrev_b32_e32 v3, 16, v3
	v_and_or_b32 v2, v3, s10, v2
	v_and_b32_e32 v3, 0xffff, v5
	v_lshl_or_b32 v2, v2, 16, v3
	v_mov_b32_e32 v3, s2
	v_add_co_u32_e32 v0, vcc, s3, v0
	v_addc_co_u32_e32 v1, vcc, v1, v3, vcc
	global_store_dword v[0:1], v2, off
.LBB0_23:
	s_endpgm
	.section	.rodata,"a",@progbits
	.p2align	6, 0x0
	.amdhsa_kernel bluestein_single_back_len286_dim1_half_op_CI_CI
		.amdhsa_group_segment_fixed_size 2288
		.amdhsa_private_segment_fixed_size 0
		.amdhsa_kernarg_size 104
		.amdhsa_user_sgpr_count 6
		.amdhsa_user_sgpr_private_segment_buffer 1
		.amdhsa_user_sgpr_dispatch_ptr 0
		.amdhsa_user_sgpr_queue_ptr 0
		.amdhsa_user_sgpr_kernarg_segment_ptr 1
		.amdhsa_user_sgpr_dispatch_id 0
		.amdhsa_user_sgpr_flat_scratch_init 0
		.amdhsa_user_sgpr_private_segment_size 0
		.amdhsa_uses_dynamic_stack 0
		.amdhsa_system_sgpr_private_segment_wavefront_offset 0
		.amdhsa_system_sgpr_workgroup_id_x 1
		.amdhsa_system_sgpr_workgroup_id_y 0
		.amdhsa_system_sgpr_workgroup_id_z 0
		.amdhsa_system_sgpr_workgroup_info 0
		.amdhsa_system_vgpr_workitem_id 0
		.amdhsa_next_free_vgpr 147
		.amdhsa_next_free_sgpr 31
		.amdhsa_reserve_vcc 1
		.amdhsa_reserve_flat_scratch 0
		.amdhsa_float_round_mode_32 0
		.amdhsa_float_round_mode_16_64 0
		.amdhsa_float_denorm_mode_32 3
		.amdhsa_float_denorm_mode_16_64 3
		.amdhsa_dx10_clamp 1
		.amdhsa_ieee_mode 1
		.amdhsa_fp16_overflow 0
		.amdhsa_exception_fp_ieee_invalid_op 0
		.amdhsa_exception_fp_denorm_src 0
		.amdhsa_exception_fp_ieee_div_zero 0
		.amdhsa_exception_fp_ieee_overflow 0
		.amdhsa_exception_fp_ieee_underflow 0
		.amdhsa_exception_fp_ieee_inexact 0
		.amdhsa_exception_int_div_zero 0
	.end_amdhsa_kernel
	.text
.Lfunc_end0:
	.size	bluestein_single_back_len286_dim1_half_op_CI_CI, .Lfunc_end0-bluestein_single_back_len286_dim1_half_op_CI_CI
                                        ; -- End function
	.section	.AMDGPU.csdata,"",@progbits
; Kernel info:
; codeLenInByte = 21208
; NumSgprs: 35
; NumVgprs: 147
; ScratchSize: 0
; MemoryBound: 0
; FloatMode: 240
; IeeeMode: 1
; LDSByteSize: 2288 bytes/workgroup (compile time only)
; SGPRBlocks: 4
; VGPRBlocks: 36
; NumSGPRsForWavesPerEU: 35
; NumVGPRsForWavesPerEU: 147
; Occupancy: 1
; WaveLimiterHint : 1
; COMPUTE_PGM_RSRC2:SCRATCH_EN: 0
; COMPUTE_PGM_RSRC2:USER_SGPR: 6
; COMPUTE_PGM_RSRC2:TRAP_HANDLER: 0
; COMPUTE_PGM_RSRC2:TGID_X_EN: 1
; COMPUTE_PGM_RSRC2:TGID_Y_EN: 0
; COMPUTE_PGM_RSRC2:TGID_Z_EN: 0
; COMPUTE_PGM_RSRC2:TIDIG_COMP_CNT: 0
	.type	__hip_cuid_c48c559aff466929,@object ; @__hip_cuid_c48c559aff466929
	.section	.bss,"aw",@nobits
	.globl	__hip_cuid_c48c559aff466929
__hip_cuid_c48c559aff466929:
	.byte	0                               ; 0x0
	.size	__hip_cuid_c48c559aff466929, 1

	.ident	"AMD clang version 19.0.0git (https://github.com/RadeonOpenCompute/llvm-project roc-6.4.0 25133 c7fe45cf4b819c5991fe208aaa96edf142730f1d)"
	.section	".note.GNU-stack","",@progbits
	.addrsig
	.addrsig_sym __hip_cuid_c48c559aff466929
	.amdgpu_metadata
---
amdhsa.kernels:
  - .args:
      - .actual_access:  read_only
        .address_space:  global
        .offset:         0
        .size:           8
        .value_kind:     global_buffer
      - .actual_access:  read_only
        .address_space:  global
        .offset:         8
        .size:           8
        .value_kind:     global_buffer
      - .actual_access:  read_only
        .address_space:  global
        .offset:         16
        .size:           8
        .value_kind:     global_buffer
      - .actual_access:  read_only
        .address_space:  global
        .offset:         24
        .size:           8
        .value_kind:     global_buffer
      - .actual_access:  read_only
        .address_space:  global
        .offset:         32
        .size:           8
        .value_kind:     global_buffer
      - .offset:         40
        .size:           8
        .value_kind:     by_value
      - .address_space:  global
        .offset:         48
        .size:           8
        .value_kind:     global_buffer
      - .address_space:  global
        .offset:         56
        .size:           8
        .value_kind:     global_buffer
      - .address_space:  global
        .offset:         64
        .size:           8
        .value_kind:     global_buffer
      - .address_space:  global
        .offset:         72
        .size:           8
        .value_kind:     global_buffer
      - .offset:         80
        .size:           4
        .value_kind:     by_value
      - .address_space:  global
        .offset:         88
        .size:           8
        .value_kind:     global_buffer
      - .address_space:  global
        .offset:         96
        .size:           8
        .value_kind:     global_buffer
    .group_segment_fixed_size: 2288
    .kernarg_segment_align: 8
    .kernarg_segment_size: 104
    .language:       OpenCL C
    .language_version:
      - 2
      - 0
    .max_flat_workgroup_size: 52
    .name:           bluestein_single_back_len286_dim1_half_op_CI_CI
    .private_segment_fixed_size: 0
    .sgpr_count:     35
    .sgpr_spill_count: 0
    .symbol:         bluestein_single_back_len286_dim1_half_op_CI_CI.kd
    .uniform_work_group_size: 1
    .uses_dynamic_stack: false
    .vgpr_count:     147
    .vgpr_spill_count: 0
    .wavefront_size: 64
amdhsa.target:   amdgcn-amd-amdhsa--gfx906
amdhsa.version:
  - 1
  - 2
...

	.end_amdgpu_metadata
